;; amdgpu-corpus repo=ROCm/rocFFT kind=compiled arch=gfx950 opt=O3
	.text
	.amdgcn_target "amdgcn-amd-amdhsa--gfx950"
	.amdhsa_code_object_version 6
	.protected	fft_rtc_fwd_len676_factors_13_13_4_wgs_52_tpt_52_dp_op_CI_CI_sbrr_dirReg ; -- Begin function fft_rtc_fwd_len676_factors_13_13_4_wgs_52_tpt_52_dp_op_CI_CI_sbrr_dirReg
	.globl	fft_rtc_fwd_len676_factors_13_13_4_wgs_52_tpt_52_dp_op_CI_CI_sbrr_dirReg
	.p2align	8
	.type	fft_rtc_fwd_len676_factors_13_13_4_wgs_52_tpt_52_dp_op_CI_CI_sbrr_dirReg,@function
fft_rtc_fwd_len676_factors_13_13_4_wgs_52_tpt_52_dp_op_CI_CI_sbrr_dirReg: ; @fft_rtc_fwd_len676_factors_13_13_4_wgs_52_tpt_52_dp_op_CI_CI_sbrr_dirReg
; %bb.0:
	s_load_dwordx4 s[12:15], s[0:1], 0x18
	s_load_dwordx4 s[4:7], s[0:1], 0x0
	;; [unrolled: 1-line block ×3, first 2 shown]
	v_mul_u32_u24_e32 v1, 0x4ed, v0
	v_add_u32_sdwa v6, s2, v1 dst_sel:DWORD dst_unused:UNUSED_PAD src0_sel:DWORD src1_sel:WORD_1
	s_waitcnt lgkmcnt(0)
	s_load_dwordx2 s[20:21], s[12:13], 0x0
	s_load_dwordx2 s[16:17], s[14:15], 0x0
	v_mov_b32_e32 v4, 0
	v_cmp_lt_u64_e64 s[2:3], s[6:7], 2
	v_mov_b32_e32 v7, v4
	s_and_b64 vcc, exec, s[2:3]
	v_mov_b64_e32 v[2:3], 0
	s_cbranch_vccnz .LBB0_8
; %bb.1:
	s_load_dwordx2 s[2:3], s[0:1], 0x10
	s_add_u32 s18, s14, 8
	s_addc_u32 s19, s15, 0
	s_add_u32 s22, s12, 8
	s_addc_u32 s23, s13, 0
	s_waitcnt lgkmcnt(0)
	s_add_u32 s24, s2, 8
	v_mov_b64_e32 v[2:3], 0
	s_addc_u32 s25, s3, 0
	s_mov_b64 s[26:27], 1
	v_mov_b64_e32 v[64:65], v[2:3]
.LBB0_2:                                ; =>This Inner Loop Header: Depth=1
	s_load_dwordx2 s[28:29], s[24:25], 0x0
                                        ; implicit-def: $vgpr66_vgpr67
	s_waitcnt lgkmcnt(0)
	v_or_b32_e32 v5, s29, v7
	v_cmp_ne_u64_e32 vcc, 0, v[4:5]
	s_and_saveexec_b64 s[2:3], vcc
	s_xor_b64 s[30:31], exec, s[2:3]
	s_cbranch_execz .LBB0_4
; %bb.3:                                ;   in Loop: Header=BB0_2 Depth=1
	v_cvt_f32_u32_e32 v1, s28
	v_cvt_f32_u32_e32 v5, s29
	s_sub_u32 s2, 0, s28
	s_subb_u32 s3, 0, s29
	v_fmac_f32_e32 v1, 0x4f800000, v5
	v_rcp_f32_e32 v1, v1
	s_nop 0
	v_mul_f32_e32 v1, 0x5f7ffffc, v1
	v_mul_f32_e32 v5, 0x2f800000, v1
	v_trunc_f32_e32 v5, v5
	v_fmac_f32_e32 v1, 0xcf800000, v5
	v_cvt_u32_f32_e32 v5, v5
	v_cvt_u32_f32_e32 v1, v1
	v_mul_lo_u32 v8, s2, v5
	v_mul_hi_u32 v10, s2, v1
	v_mul_lo_u32 v9, s3, v1
	v_add_u32_e32 v10, v10, v8
	v_mul_lo_u32 v12, s2, v1
	v_add_u32_e32 v13, v10, v9
	v_mul_hi_u32 v8, v1, v12
	v_mul_hi_u32 v11, v1, v13
	v_mul_lo_u32 v10, v1, v13
	v_mov_b32_e32 v9, v4
	v_lshl_add_u64 v[8:9], v[8:9], 0, v[10:11]
	v_mul_hi_u32 v11, v5, v12
	v_mul_lo_u32 v12, v5, v12
	v_add_co_u32_e32 v8, vcc, v8, v12
	v_mul_hi_u32 v10, v5, v13
	s_nop 0
	v_addc_co_u32_e32 v8, vcc, v9, v11, vcc
	v_mov_b32_e32 v9, v4
	s_nop 0
	v_addc_co_u32_e32 v11, vcc, 0, v10, vcc
	v_mul_lo_u32 v10, v5, v13
	v_lshl_add_u64 v[8:9], v[8:9], 0, v[10:11]
	v_add_co_u32_e32 v1, vcc, v1, v8
	v_mul_lo_u32 v10, s2, v1
	s_nop 0
	v_addc_co_u32_e32 v5, vcc, v5, v9, vcc
	v_mul_lo_u32 v8, s2, v5
	v_mul_hi_u32 v9, s2, v1
	v_add_u32_e32 v8, v9, v8
	v_mul_lo_u32 v9, s3, v1
	v_add_u32_e32 v12, v8, v9
	v_mul_hi_u32 v14, v5, v10
	v_mul_lo_u32 v15, v5, v10
	v_mul_hi_u32 v9, v1, v12
	v_mul_lo_u32 v8, v1, v12
	v_mul_hi_u32 v10, v1, v10
	v_mov_b32_e32 v11, v4
	v_lshl_add_u64 v[8:9], v[10:11], 0, v[8:9]
	v_add_co_u32_e32 v8, vcc, v8, v15
	v_mul_hi_u32 v13, v5, v12
	s_nop 0
	v_addc_co_u32_e32 v8, vcc, v9, v14, vcc
	v_mul_lo_u32 v10, v5, v12
	s_nop 0
	v_addc_co_u32_e32 v11, vcc, 0, v13, vcc
	v_mov_b32_e32 v9, v4
	v_lshl_add_u64 v[8:9], v[8:9], 0, v[10:11]
	v_add_co_u32_e32 v1, vcc, v1, v8
	v_mul_hi_u32 v10, v6, v1
	s_nop 0
	v_addc_co_u32_e32 v5, vcc, v5, v9, vcc
	v_mad_u64_u32 v[8:9], s[2:3], v6, v5, 0
	v_mov_b32_e32 v11, v4
	v_lshl_add_u64 v[8:9], v[10:11], 0, v[8:9]
	v_mad_u64_u32 v[12:13], s[2:3], v7, v1, 0
	v_add_co_u32_e32 v1, vcc, v8, v12
	v_mad_u64_u32 v[10:11], s[2:3], v7, v5, 0
	s_nop 0
	v_addc_co_u32_e32 v8, vcc, v9, v13, vcc
	v_mov_b32_e32 v9, v4
	s_nop 0
	v_addc_co_u32_e32 v11, vcc, 0, v11, vcc
	v_lshl_add_u64 v[8:9], v[8:9], 0, v[10:11]
	v_mul_lo_u32 v1, s29, v8
	v_mul_lo_u32 v5, s28, v9
	v_mad_u64_u32 v[10:11], s[2:3], s28, v8, 0
	v_add3_u32 v1, v11, v5, v1
	v_sub_u32_e32 v5, v7, v1
	v_mov_b32_e32 v11, s29
	v_sub_co_u32_e32 v14, vcc, v6, v10
	v_lshl_add_u64 v[12:13], v[8:9], 0, 1
	s_nop 0
	v_subb_co_u32_e64 v5, s[2:3], v5, v11, vcc
	v_subrev_co_u32_e64 v10, s[2:3], s28, v14
	v_subb_co_u32_e32 v1, vcc, v7, v1, vcc
	s_nop 0
	v_subbrev_co_u32_e64 v5, s[2:3], 0, v5, s[2:3]
	v_cmp_le_u32_e64 s[2:3], s29, v5
	v_cmp_le_u32_e32 vcc, s29, v1
	s_nop 0
	v_cndmask_b32_e64 v11, 0, -1, s[2:3]
	v_cmp_le_u32_e64 s[2:3], s28, v10
	s_nop 1
	v_cndmask_b32_e64 v10, 0, -1, s[2:3]
	v_cmp_eq_u32_e64 s[2:3], s29, v5
	s_nop 1
	v_cndmask_b32_e64 v5, v11, v10, s[2:3]
	v_lshl_add_u64 v[10:11], v[8:9], 0, 2
	v_cmp_ne_u32_e64 s[2:3], 0, v5
	s_nop 1
	v_cndmask_b32_e64 v5, v13, v11, s[2:3]
	v_cndmask_b32_e64 v11, 0, -1, vcc
	v_cmp_le_u32_e32 vcc, s28, v14
	s_nop 1
	v_cndmask_b32_e64 v13, 0, -1, vcc
	v_cmp_eq_u32_e32 vcc, s29, v1
	s_nop 1
	v_cndmask_b32_e32 v1, v11, v13, vcc
	v_cmp_ne_u32_e32 vcc, 0, v1
	v_cndmask_b32_e64 v1, v12, v10, s[2:3]
	s_nop 0
	v_cndmask_b32_e32 v67, v9, v5, vcc
	v_cndmask_b32_e32 v66, v8, v1, vcc
.LBB0_4:                                ;   in Loop: Header=BB0_2 Depth=1
	s_andn2_saveexec_b64 s[2:3], s[30:31]
	s_cbranch_execz .LBB0_6
; %bb.5:                                ;   in Loop: Header=BB0_2 Depth=1
	v_cvt_f32_u32_e32 v1, s28
	s_sub_i32 s30, 0, s28
	v_mov_b32_e32 v67, v4
	v_rcp_iflag_f32_e32 v1, v1
	s_nop 0
	v_mul_f32_e32 v1, 0x4f7ffffe, v1
	v_cvt_u32_f32_e32 v1, v1
	v_mul_lo_u32 v5, s30, v1
	v_mul_hi_u32 v5, v1, v5
	v_add_u32_e32 v1, v1, v5
	v_mul_hi_u32 v1, v6, v1
	v_mul_lo_u32 v5, v1, s28
	v_sub_u32_e32 v5, v6, v5
	v_add_u32_e32 v8, 1, v1
	v_subrev_u32_e32 v9, s28, v5
	v_cmp_le_u32_e32 vcc, s28, v5
	s_nop 1
	v_cndmask_b32_e32 v5, v5, v9, vcc
	v_cndmask_b32_e32 v1, v1, v8, vcc
	v_add_u32_e32 v8, 1, v1
	v_cmp_le_u32_e32 vcc, s28, v5
	s_nop 1
	v_cndmask_b32_e32 v66, v1, v8, vcc
.LBB0_6:                                ;   in Loop: Header=BB0_2 Depth=1
	s_or_b64 exec, exec, s[2:3]
	v_mad_u64_u32 v[8:9], s[2:3], v66, s28, 0
	s_load_dwordx2 s[2:3], s[22:23], 0x0
	v_mul_lo_u32 v1, v67, s28
	v_mul_lo_u32 v5, v66, s29
	s_load_dwordx2 s[28:29], s[18:19], 0x0
	s_add_u32 s26, s26, 1
	v_add3_u32 v1, v9, v5, v1
	v_sub_co_u32_e32 v5, vcc, v6, v8
	s_addc_u32 s27, s27, 0
	s_nop 0
	v_subb_co_u32_e32 v1, vcc, v7, v1, vcc
	s_add_u32 s18, s18, 8
	s_waitcnt lgkmcnt(0)
	v_mul_lo_u32 v6, s2, v1
	v_mul_lo_u32 v7, s3, v5
	v_mad_u64_u32 v[2:3], s[2:3], s2, v5, v[2:3]
	s_addc_u32 s19, s19, 0
	v_add3_u32 v3, v7, v3, v6
	v_mul_lo_u32 v1, s28, v1
	v_mul_lo_u32 v6, s29, v5
	v_mad_u64_u32 v[64:65], s[2:3], s28, v5, v[64:65]
	s_add_u32 s22, s22, 8
	v_add3_u32 v65, v6, v65, v1
	s_addc_u32 s23, s23, 0
	v_mov_b64_e32 v[6:7], s[6:7]
	s_add_u32 s24, s24, 8
	v_cmp_ge_u64_e32 vcc, s[26:27], v[6:7]
	s_addc_u32 s25, s25, 0
	s_cbranch_vccnz .LBB0_9
; %bb.7:                                ;   in Loop: Header=BB0_2 Depth=1
	v_mov_b64_e32 v[6:7], v[66:67]
	s_branch .LBB0_2
.LBB0_8:
	v_mov_b64_e32 v[64:65], v[2:3]
	v_mov_b64_e32 v[66:67], v[6:7]
.LBB0_9:
	s_load_dwordx2 s[0:1], s[0:1], 0x28
	s_lshl_b64 s[2:3], s[6:7], 3
	s_add_u32 s18, s14, s2
	s_addc_u32 s19, s15, s3
                                        ; implicit-def: $vgpr82
                                        ; implicit-def: $vgpr84
                                        ; implicit-def: $vgpr85
                                        ; implicit-def: $vgpr83
	s_waitcnt lgkmcnt(0)
	v_cmp_gt_u64_e32 vcc, s[0:1], v[66:67]
	v_cmp_le_u64_e64 s[0:1], s[0:1], v[66:67]
	s_and_saveexec_b64 s[6:7], s[0:1]
	s_xor_b64 s[0:1], exec, s[6:7]
; %bb.10:
	s_mov_b32 s6, 0x4ec4ec5
	v_mul_hi_u32 v1, v0, s6
	v_mul_u32_u24_e32 v1, 52, v1
	v_sub_u32_e32 v82, v0, v1
	v_add_u32_e32 v84, 52, v82
	v_add_u32_e32 v85, 0x68, v82
	;; [unrolled: 1-line block ×3, first 2 shown]
                                        ; implicit-def: $vgpr0
                                        ; implicit-def: $vgpr2_vgpr3
; %bb.11:
	s_or_saveexec_b64 s[0:1], s[0:1]
                                        ; implicit-def: $vgpr50_vgpr51
                                        ; implicit-def: $vgpr38_vgpr39
                                        ; implicit-def: $vgpr14_vgpr15
                                        ; implicit-def: $vgpr6_vgpr7
                                        ; implicit-def: $vgpr30_vgpr31
                                        ; implicit-def: $vgpr42_vgpr43
                                        ; implicit-def: $vgpr54_vgpr55
                                        ; implicit-def: $vgpr46_vgpr47
                                        ; implicit-def: $vgpr18_vgpr19
                                        ; implicit-def: $vgpr10_vgpr11
                                        ; implicit-def: $vgpr26_vgpr27
                                        ; implicit-def: $vgpr34_vgpr35
                                        ; implicit-def: $vgpr22_vgpr23
	s_xor_b64 exec, exec, s[0:1]
	s_cbranch_execz .LBB0_13
; %bb.12:
	s_add_u32 s2, s12, s2
	s_addc_u32 s3, s13, s3
	s_load_dwordx2 s[2:3], s[2:3], 0x0
	s_mov_b32 s6, 0x4ec4ec5
	s_waitcnt lgkmcnt(0)
	v_mul_lo_u32 v1, s3, v66
	v_mul_lo_u32 v6, s2, v67
	v_mad_u64_u32 v[4:5], s[2:3], s2, v66, 0
	v_add3_u32 v5, v5, v6, v1
	v_mul_hi_u32 v1, v0, s6
	v_mul_u32_u24_e32 v1, 52, v1
	v_sub_u32_e32 v82, v0, v1
	v_mad_u64_u32 v[0:1], s[2:3], s20, v82, 0
	v_mov_b32_e32 v6, v1
	v_lshl_add_u64 v[4:5], v[4:5], 4, s[8:9]
	v_add_u32_e32 v84, 52, v82
	v_mad_u64_u32 v[6:7], s[2:3], s21, v82, v[6:7]
	v_lshl_add_u64 v[2:3], v[2:3], 4, v[4:5]
	v_mad_u64_u32 v[4:5], s[2:3], s20, v84, 0
	v_mov_b32_e32 v1, v6
	v_mov_b32_e32 v6, v5
	v_mad_u64_u32 v[6:7], s[2:3], s21, v84, v[6:7]
	v_lshl_add_u64 v[0:1], v[0:1], 4, v[2:3]
	v_mov_b32_e32 v5, v6
	v_add_u32_e32 v85, 0x68, v82
	v_lshl_add_u64 v[4:5], v[4:5], 4, v[2:3]
	global_load_dwordx4 v[20:23], v[0:1], off
	global_load_dwordx4 v[48:51], v[4:5], off
	v_mad_u64_u32 v[0:1], s[2:3], s20, v85, 0
	v_mov_b32_e32 v4, v1
	v_mad_u64_u32 v[4:5], s[2:3], s21, v85, v[4:5]
	v_add_u32_e32 v83, 0x9c, v82
	v_mov_b32_e32 v1, v4
	v_mad_u64_u32 v[4:5], s[2:3], s20, v83, 0
	v_mov_b32_e32 v6, v5
	v_mad_u64_u32 v[6:7], s[2:3], s21, v83, v[6:7]
	v_mov_b32_e32 v5, v6
	v_lshl_add_u64 v[0:1], v[0:1], 4, v[2:3]
	v_lshl_add_u64 v[4:5], v[4:5], 4, v[2:3]
	global_load_dwordx4 v[36:39], v[0:1], off
	global_load_dwordx4 v[32:35], v[4:5], off
	v_add_u32_e32 v5, 0xd0, v82
	v_mad_u64_u32 v[0:1], s[2:3], s20, v5, 0
	v_mov_b32_e32 v4, v1
	v_mad_u64_u32 v[4:5], s[2:3], s21, v5, v[4:5]
	v_add_u32_e32 v7, 0x104, v82
	v_mov_b32_e32 v1, v4
	v_mad_u64_u32 v[4:5], s[2:3], s20, v7, 0
	v_mov_b32_e32 v6, v5
	v_mad_u64_u32 v[6:7], s[2:3], s21, v7, v[6:7]
	v_mov_b32_e32 v5, v6
	v_lshl_add_u64 v[0:1], v[0:1], 4, v[2:3]
	v_lshl_add_u64 v[4:5], v[4:5], 4, v[2:3]
	global_load_dwordx4 v[24:27], v[0:1], off
	global_load_dwordx4 v[12:15], v[4:5], off
	v_add_u32_e32 v5, 0x138, v82
	v_mad_u64_u32 v[0:1], s[2:3], s20, v5, 0
	v_mov_b32_e32 v4, v1
	v_mad_u64_u32 v[4:5], s[2:3], s21, v5, v[4:5]
	v_add_u32_e32 v7, 0x16c, v82
	v_mov_b32_e32 v1, v4
	v_mad_u64_u32 v[4:5], s[2:3], s20, v7, 0
	v_mov_b32_e32 v6, v5
	v_mad_u64_u32 v[6:7], s[2:3], s21, v7, v[6:7]
	v_mov_b32_e32 v5, v6
	v_lshl_add_u64 v[0:1], v[0:1], 4, v[2:3]
	v_lshl_add_u64 v[16:17], v[4:5], 4, v[2:3]
	global_load_dwordx4 v[4:7], v[0:1], off
	global_load_dwordx4 v[8:11], v[16:17], off
	v_add_u32_e32 v17, 0x1a0, v82
	v_mad_u64_u32 v[0:1], s[2:3], s20, v17, 0
	v_mov_b32_e32 v16, v1
	v_mad_u64_u32 v[16:17], s[2:3], s21, v17, v[16:17]
	v_add_u32_e32 v19, 0x1d4, v82
	v_mov_b32_e32 v1, v16
	v_mad_u64_u32 v[16:17], s[2:3], s20, v19, 0
	v_mov_b32_e32 v18, v17
	v_mad_u64_u32 v[18:19], s[2:3], s21, v19, v[18:19]
	v_mov_b32_e32 v17, v18
	v_lshl_add_u64 v[0:1], v[0:1], 4, v[2:3]
	v_lshl_add_u64 v[40:41], v[16:17], 4, v[2:3]
	global_load_dwordx4 v[16:19], v[0:1], off
	global_load_dwordx4 v[28:31], v[40:41], off
	v_add_u32_e32 v41, 0x208, v82
	v_mad_u64_u32 v[0:1], s[2:3], s20, v41, 0
	v_mov_b32_e32 v40, v1
	v_mad_u64_u32 v[40:41], s[2:3], s21, v41, v[40:41]
	v_add_u32_e32 v43, 0x23c, v82
	v_mov_b32_e32 v1, v40
	v_mad_u64_u32 v[40:41], s[2:3], s20, v43, 0
	v_mov_b32_e32 v42, v41
	v_mad_u64_u32 v[42:43], s[2:3], s21, v43, v[42:43]
	v_mov_b32_e32 v41, v42
	v_lshl_add_u64 v[52:53], v[40:41], 4, v[2:3]
	v_add_u32_e32 v41, 0x270, v82
	v_mad_u64_u32 v[54:55], s[2:3], s20, v41, 0
	v_mov_b32_e32 v40, v55
	v_mad_u64_u32 v[56:57], s[2:3], s21, v41, v[40:41]
	v_lshl_add_u64 v[0:1], v[0:1], 4, v[2:3]
	v_mov_b32_e32 v55, v56
	global_load_dwordx4 v[40:43], v[0:1], off
	global_load_dwordx4 v[44:47], v[52:53], off
	v_lshl_add_u64 v[0:1], v[54:55], 4, v[2:3]
	global_load_dwordx4 v[52:55], v[0:1], off
.LBB0_13:
	s_or_b64 exec, exec, s[0:1]
	s_waitcnt vmcnt(11)
	v_add_f64 v[0:1], v[48:49], v[20:21]
	v_add_f64 v[2:3], v[50:51], v[22:23]
	s_waitcnt vmcnt(10)
	v_add_f64 v[0:1], v[36:37], v[0:1]
	v_add_f64 v[2:3], v[38:39], v[2:3]
	;; [unrolled: 3-line block ×10, first 2 shown]
	s_waitcnt vmcnt(1)
	v_add_f64 v[0:1], v[44:45], v[0:1]
	s_mov_b32 s22, 0xe00740e9
	s_mov_b32 s24, 0x4267c47c
	;; [unrolled: 1-line block ×12, first 2 shown]
	v_add_f64 v[2:3], v[46:47], v[2:3]
	s_waitcnt vmcnt(0)
	v_add_f64 v[0:1], v[52:53], v[0:1]
	v_add_f64 v[62:63], v[48:49], v[52:53]
	v_add_f64 v[52:53], v[48:49], -v[52:53]
	s_mov_b32 s23, 0x3fec55a7
	s_mov_b32 s25, 0x3fddbe06
	;; [unrolled: 1-line block ×24, first 2 shown]
	v_add_f64 v[2:3], v[54:55], v[2:3]
	v_add_f64 v[56:57], v[50:51], v[54:55]
	v_add_f64 v[60:61], v[50:51], -v[54:55]
	v_mul_f64 v[48:49], v[62:63], s[22:23]
	v_mul_f64 v[70:71], v[52:53], s[42:43]
	;; [unrolled: 1-line block ×5, first 2 shown]
	v_add_f64 v[80:81], v[36:37], v[44:45]
	v_add_f64 v[78:79], v[38:39], v[46:47]
	v_add_f64 v[44:45], v[36:37], -v[44:45]
	v_add_f64 v[36:37], v[38:39], -v[46:47]
	v_add_f64 v[46:47], v[40:41], v[32:33]
	v_add_f64 v[38:39], v[42:43], v[34:35]
	v_add_f64 v[40:41], v[32:33], -v[40:41]
	v_add_f64 v[32:33], v[34:35], -v[42:43]
	v_add_f64 v[34:35], v[28:29], v[24:25]
	v_add_f64 v[24:25], v[24:25], -v[28:29]
	v_mul_f64 v[28:29], v[62:63], s[20:21]
	v_mul_f64 v[62:63], v[62:63], s[36:37]
	;; [unrolled: 1-line block ×7, first 2 shown]
	v_fma_f64 v[50:51], s[24:25], v[60:61], v[48:49]
	v_fmac_f64_e32 v[48:49], s[42:43], v[60:61]
	v_fma_f64 v[58:59], s[14:15], v[60:61], v[54:55]
	v_fmac_f64_e32 v[54:55], s[26:27], v[60:61]
	;; [unrolled: 2-line block ×4, first 2 shown]
	v_add_f64 v[42:43], v[30:31], v[26:27]
	v_add_f64 v[26:27], v[26:27], -v[30:31]
	v_fma_f64 v[30:31], s[44:45], v[60:61], v[28:29]
	v_fmac_f64_e32 v[28:29], s[30:31], v[60:61]
	v_fma_f64 v[86:87], s[40:41], v[60:61], v[62:63]
	v_fmac_f64_e32 v[62:63], s[38:39], v[60:61]
	v_fma_f64 v[60:61], s[22:23], v[56:57], v[70:71]
	v_fma_f64 v[70:71], v[56:57], s[22:23], -v[70:71]
	v_fma_f64 v[90:91], s[8:9], v[56:57], v[88:89]
	v_fma_f64 v[88:89], v[56:57], s[8:9], -v[88:89]
	;; [unrolled: 2-line block ×6, first 2 shown]
	v_add_f64 v[56:57], v[60:61], v[22:23]
	v_add_f64 v[60:61], v[70:71], v[22:23]
	v_add_f64 v[70:71], v[90:91], v[22:23]
	v_add_f64 v[88:89], v[88:89], v[22:23]
	v_add_f64 v[90:91], v[94:95], v[22:23]
	v_add_f64 v[92:93], v[92:93], v[22:23]
	v_add_f64 v[94:95], v[98:99], v[22:23]
	v_add_f64 v[96:97], v[96:97], v[22:23]
	v_add_f64 v[98:99], v[102:103], v[22:23]
	v_add_f64 v[100:101], v[100:101], v[22:23]
	v_add_f64 v[102:103], v[104:105], v[22:23]
	v_add_f64 v[22:23], v[52:53], v[22:23]
	v_mul_f64 v[52:53], v[80:81], s[8:9]
	v_add_f64 v[50:51], v[50:51], v[20:21]
	v_add_f64 v[48:49], v[48:49], v[20:21]
	;; [unrolled: 1-line block ×12, first 2 shown]
	v_fma_f64 v[62:63], s[14:15], v[36:37], v[52:53]
	v_add_f64 v[50:51], v[62:63], v[50:51]
	v_mul_f64 v[62:63], v[44:45], s[26:27]
	v_fmac_f64_e32 v[52:53], s[26:27], v[36:37]
	v_add_f64 v[48:49], v[52:53], v[48:49]
	v_fma_f64 v[52:53], v[78:79], s[8:9], -v[62:63]
	v_add_f64 v[52:53], v[52:53], v[60:61]
	v_mul_f64 v[60:61], v[80:81], s[6:7]
	v_fma_f64 v[104:105], s[8:9], v[78:79], v[62:63]
	v_fma_f64 v[62:63], s[34:35], v[36:37], v[60:61]
	v_add_f64 v[58:59], v[62:63], v[58:59]
	v_mul_f64 v[62:63], v[44:45], s[12:13]
	v_fmac_f64_e32 v[60:61], s[12:13], v[36:37]
	v_add_f64 v[56:57], v[104:105], v[56:57]
	v_fma_f64 v[104:105], s[6:7], v[78:79], v[62:63]
	v_add_f64 v[54:55], v[60:61], v[54:55]
	v_fma_f64 v[60:61], v[78:79], s[6:7], -v[62:63]
	v_mul_f64 v[62:63], v[80:81], s[36:37]
	v_add_f64 v[60:61], v[60:61], v[88:89]
	v_fma_f64 v[88:89], s[40:41], v[36:37], v[62:63]
	v_add_f64 v[72:73], v[88:89], v[72:73]
	v_mul_f64 v[88:89], v[44:45], s[38:39]
	v_fmac_f64_e32 v[62:63], s[38:39], v[36:37]
	v_add_f64 v[70:71], v[104:105], v[70:71]
	v_fma_f64 v[104:105], s[36:37], v[78:79], v[88:89]
	v_add_f64 v[62:63], v[62:63], v[68:69]
	v_fma_f64 v[68:69], v[78:79], s[36:37], -v[88:89]
	v_mul_f64 v[88:89], v[80:81], s[20:21]
	v_add_f64 v[68:69], v[68:69], v[92:93]
	;; [unrolled: 10-line block ×3, first 2 shown]
	v_fma_f64 v[96:97], s[28:29], v[36:37], v[92:93]
	v_add_f64 v[30:31], v[96:97], v[30:31]
	v_mul_f64 v[96:97], v[44:45], s[2:3]
	v_fmac_f64_e32 v[92:93], s[2:3], v[36:37]
	v_mul_f64 v[80:81], v[80:81], s[22:23]
	v_mul_f64 v[44:45], v[44:45], s[24:25]
	v_add_f64 v[94:95], v[104:105], v[94:95]
	v_fma_f64 v[104:105], s[0:1], v[78:79], v[96:97]
	v_add_f64 v[28:29], v[92:93], v[28:29]
	v_fma_f64 v[92:93], v[78:79], s[0:1], -v[96:97]
	v_fma_f64 v[96:97], s[42:43], v[36:37], v[80:81]
	v_fmac_f64_e32 v[80:81], s[24:25], v[36:37]
	v_fma_f64 v[36:37], v[78:79], s[22:23], -v[44:45]
	v_add_f64 v[22:23], v[36:37], v[22:23]
	v_mul_f64 v[36:37], v[46:47], s[0:1]
	v_add_f64 v[86:87], v[96:97], v[86:87]
	v_fma_f64 v[96:97], s[22:23], v[78:79], v[44:45]
	v_fma_f64 v[44:45], s[2:3], v[32:33], v[36:37]
	v_add_f64 v[44:45], v[44:45], v[50:51]
	v_mul_f64 v[50:51], v[40:41], s[28:29]
	v_fmac_f64_e32 v[36:37], s[28:29], v[32:33]
	v_fma_f64 v[78:79], s[0:1], v[38:39], v[50:51]
	v_add_f64 v[36:37], v[36:37], v[48:49]
	v_fma_f64 v[48:49], v[38:39], s[0:1], -v[50:51]
	v_mul_f64 v[50:51], v[46:47], s[36:37]
	v_add_f64 v[48:49], v[48:49], v[52:53]
	v_fma_f64 v[52:53], s[40:41], v[32:33], v[50:51]
	v_add_f64 v[52:53], v[52:53], v[58:59]
	v_mul_f64 v[58:59], v[40:41], s[38:39]
	v_fmac_f64_e32 v[50:51], s[38:39], v[32:33]
	v_add_f64 v[56:57], v[78:79], v[56:57]
	v_fma_f64 v[78:79], s[36:37], v[38:39], v[58:59]
	v_add_f64 v[50:51], v[50:51], v[54:55]
	v_fma_f64 v[54:55], v[38:39], s[36:37], -v[58:59]
	v_mul_f64 v[58:59], v[46:47], s[6:7]
	v_add_f64 v[54:55], v[54:55], v[60:61]
	v_fma_f64 v[60:61], s[12:13], v[32:33], v[58:59]
	v_add_f64 v[60:61], v[60:61], v[72:73]
	v_mul_f64 v[72:73], v[40:41], s[34:35]
	v_fmac_f64_e32 v[58:59], s[34:35], v[32:33]
	v_add_f64 v[58:59], v[58:59], v[62:63]
	v_fma_f64 v[62:63], v[38:39], s[6:7], -v[72:73]
	v_add_f64 v[62:63], v[62:63], v[68:69]
	v_mul_f64 v[68:69], v[46:47], s[22:23]
	v_add_f64 v[70:71], v[78:79], v[70:71]
	v_fma_f64 v[78:79], s[6:7], v[38:39], v[72:73]
	v_fma_f64 v[72:73], s[42:43], v[32:33], v[68:69]
	v_add_f64 v[72:73], v[72:73], v[76:77]
	v_mul_f64 v[76:77], v[40:41], s[24:25]
	v_fmac_f64_e32 v[68:69], s[24:25], v[32:33]
	v_add_f64 v[20:21], v[80:81], v[20:21]
	v_fma_f64 v[80:81], s[22:23], v[38:39], v[76:77]
	v_add_f64 v[68:69], v[68:69], v[74:75]
	v_fma_f64 v[74:75], v[38:39], s[22:23], -v[76:77]
	v_mul_f64 v[76:77], v[46:47], s[8:9]
	v_add_f64 v[74:75], v[74:75], v[88:89]
	v_fma_f64 v[88:89], s[14:15], v[32:33], v[76:77]
	v_add_f64 v[30:31], v[88:89], v[30:31]
	v_mul_f64 v[88:89], v[40:41], s[26:27]
	v_fmac_f64_e32 v[76:77], s[26:27], v[32:33]
	v_mul_f64 v[46:47], v[46:47], s[20:21]
	v_mul_f64 v[40:41], v[40:41], s[30:31]
	v_add_f64 v[78:79], v[78:79], v[90:91]
	v_fma_f64 v[90:91], s[8:9], v[38:39], v[88:89]
	v_add_f64 v[28:29], v[76:77], v[28:29]
	v_fma_f64 v[76:77], v[38:39], s[8:9], -v[88:89]
	v_fma_f64 v[88:89], s[44:45], v[32:33], v[46:47]
	v_fmac_f64_e32 v[46:47], s[30:31], v[32:33]
	v_fma_f64 v[32:33], v[38:39], s[20:21], -v[40:41]
	v_add_f64 v[22:23], v[32:33], v[22:23]
	v_mul_f64 v[32:33], v[34:35], s[6:7]
	v_add_f64 v[86:87], v[88:89], v[86:87]
	v_fma_f64 v[88:89], s[20:21], v[38:39], v[40:41]
	v_fma_f64 v[38:39], s[34:35], v[26:27], v[32:33]
	v_mul_f64 v[40:41], v[24:25], s[12:13]
	v_fmac_f64_e32 v[32:33], s[12:13], v[26:27]
	v_add_f64 v[38:39], v[38:39], v[44:45]
	v_fma_f64 v[44:45], s[6:7], v[42:43], v[40:41]
	v_add_f64 v[32:33], v[32:33], v[36:37]
	v_fma_f64 v[36:37], v[42:43], s[6:7], -v[40:41]
	v_mul_f64 v[40:41], v[34:35], s[20:21]
	v_add_f64 v[20:21], v[46:47], v[20:21]
	v_add_f64 v[36:37], v[36:37], v[48:49]
	v_fma_f64 v[46:47], s[30:31], v[26:27], v[40:41]
	v_mul_f64 v[48:49], v[24:25], s[44:45]
	v_fmac_f64_e32 v[40:41], s[44:45], v[26:27]
	v_add_f64 v[46:47], v[46:47], v[52:53]
	v_fma_f64 v[52:53], s[20:21], v[42:43], v[48:49]
	v_add_f64 v[40:41], v[40:41], v[50:51]
	v_fma_f64 v[48:49], v[42:43], s[20:21], -v[48:49]
	v_mul_f64 v[50:51], v[34:35], s[22:23]
	v_add_f64 v[44:45], v[44:45], v[56:57]
	v_add_f64 v[48:49], v[48:49], v[54:55]
	v_fma_f64 v[54:55], s[42:43], v[26:27], v[50:51]
	v_mul_f64 v[56:57], v[24:25], s[24:25]
	v_add_f64 v[54:55], v[54:55], v[60:61]
	v_fma_f64 v[60:61], s[22:23], v[42:43], v[56:57]
	v_fma_f64 v[56:57], v[42:43], s[22:23], -v[56:57]
	v_add_f64 v[52:53], v[52:53], v[70:71]
	v_add_f64 v[70:71], v[60:61], v[78:79]
	v_fmac_f64_e32 v[50:51], s[24:25], v[26:27]
	v_add_f64 v[78:79], v[56:57], v[62:63]
	v_mul_f64 v[56:57], v[34:35], s[0:1]
	v_add_f64 v[50:51], v[50:51], v[58:59]
	v_fma_f64 v[58:59], s[2:3], v[26:27], v[56:57]
	v_add_f64 v[72:73], v[58:59], v[72:73]
	v_mul_f64 v[58:59], v[24:25], s[28:29]
	v_fmac_f64_e32 v[56:57], s[28:29], v[26:27]
	v_add_f64 v[68:69], v[56:57], v[68:69]
	v_fma_f64 v[56:57], v[42:43], s[0:1], -v[58:59]
	v_add_f64 v[74:75], v[56:57], v[74:75]
	v_mul_f64 v[56:57], v[34:35], s[36:37]
	v_fma_f64 v[60:61], s[0:1], v[42:43], v[58:59]
	v_fma_f64 v[58:59], s[38:39], v[26:27], v[56:57]
	v_add_f64 v[92:93], v[92:93], v[100:101]
	v_add_f64 v[30:31], v[58:59], v[30:31]
	v_mul_f64 v[58:59], v[24:25], s[40:41]
	v_fmac_f64_e32 v[56:57], s[40:41], v[26:27]
	v_add_f64 v[76:77], v[76:77], v[92:93]
	v_add_f64 v[28:29], v[56:57], v[28:29]
	v_fma_f64 v[56:57], v[42:43], s[36:37], -v[58:59]
	v_mul_f64 v[34:35], v[34:35], s[8:9]
	v_add_f64 v[76:77], v[56:57], v[76:77]
	v_fma_f64 v[56:57], s[26:27], v[26:27], v[34:35]
	v_mul_f64 v[24:25], v[24:25], s[14:15]
	v_add_f64 v[86:87], v[56:57], v[86:87]
	v_fma_f64 v[56:57], s[8:9], v[42:43], v[24:25]
	v_fma_f64 v[24:25], v[42:43], s[8:9], -v[24:25]
	v_add_f64 v[96:97], v[96:97], v[102:103]
	v_add_f64 v[92:93], v[24:25], v[22:23]
	;; [unrolled: 1-line block ×4, first 2 shown]
	v_add_f64 v[24:25], v[12:13], -v[16:17]
	v_add_f64 v[96:97], v[14:15], -v[18:19]
	v_mul_f64 v[12:13], v[22:23], s[20:21]
	v_add_f64 v[98:99], v[104:105], v[98:99]
	v_add_f64 v[80:81], v[80:81], v[94:95]
	;; [unrolled: 1-line block ×3, first 2 shown]
	v_fma_f64 v[14:15], s[44:45], v[96:97], v[12:13]
	v_add_f64 v[90:91], v[90:91], v[98:99]
	v_add_f64 v[98:99], v[14:15], v[38:39]
	v_mul_f64 v[14:15], v[24:25], s[30:31]
	v_fmac_f64_e32 v[12:13], s[30:31], v[96:97]
	v_add_f64 v[80:81], v[60:61], v[80:81]
	v_fma_f64 v[60:61], s[36:37], v[42:43], v[58:59]
	v_add_f64 v[62:63], v[12:13], v[32:33]
	v_fma_f64 v[12:13], v[94:95], s[20:21], -v[14:15]
	v_add_f64 v[90:91], v[60:61], v[90:91]
	v_fmac_f64_e32 v[34:35], s[14:15], v[26:27]
	v_add_f64 v[60:61], v[12:13], v[36:37]
	v_mul_f64 v[12:13], v[22:23], s[0:1]
	v_mul_f64 v[26:27], v[22:23], s[8:9]
	v_fma_f64 v[16:17], s[20:21], v[94:95], v[14:15]
	v_fma_f64 v[14:15], s[28:29], v[96:97], v[12:13]
	;; [unrolled: 1-line block ×3, first 2 shown]
	v_add_f64 v[100:101], v[16:17], v[44:45]
	v_add_f64 v[16:17], v[14:15], v[46:47]
	v_mul_f64 v[14:15], v[24:25], s[2:3]
	v_add_f64 v[58:59], v[32:33], v[54:55]
	v_mul_f64 v[32:33], v[24:25], s[26:27]
	v_fmac_f64_e32 v[26:27], s[26:27], v[96:97]
	v_fma_f64 v[18:19], s[0:1], v[94:95], v[14:15]
	v_add_f64 v[54:55], v[26:27], v[50:51]
	v_fma_f64 v[26:27], v[94:95], s[8:9], -v[32:33]
	v_add_f64 v[18:19], v[18:19], v[52:53]
	v_add_f64 v[52:53], v[26:27], v[78:79]
	v_mul_f64 v[26:27], v[22:23], s[36:37]
	v_add_f64 v[20:21], v[34:35], v[20:21]
	v_fma_f64 v[34:35], s[8:9], v[94:95], v[32:33]
	v_fma_f64 v[32:33], s[38:39], v[96:97], v[26:27]
	v_add_f64 v[50:51], v[32:33], v[72:73]
	v_mul_f64 v[32:33], v[24:25], s[40:41]
	v_fmac_f64_e32 v[26:27], s[40:41], v[96:97]
	v_add_f64 v[46:47], v[26:27], v[68:69]
	v_fma_f64 v[26:27], v[94:95], s[36:37], -v[32:33]
	v_add_f64 v[42:43], v[26:27], v[74:75]
	v_mul_f64 v[26:27], v[22:23], s[22:23]
	v_add_f64 v[88:89], v[56:57], v[88:89]
	v_add_f64 v[56:57], v[34:35], v[70:71]
	v_fma_f64 v[34:35], s[36:37], v[94:95], v[32:33]
	v_fma_f64 v[32:33], s[42:43], v[96:97], v[26:27]
	v_add_f64 v[36:37], v[32:33], v[30:31]
	v_mul_f64 v[32:33], v[24:25], s[24:25]
	v_fma_f64 v[14:15], v[94:95], s[0:1], -v[14:15]
	v_fma_f64 v[30:31], s[22:23], v[94:95], v[32:33]
	v_fmac_f64_e32 v[26:27], s[24:25], v[96:97]
	v_fmac_f64_e32 v[12:13], s[2:3], v[96:97]
	v_add_f64 v[14:15], v[14:15], v[48:49]
	v_add_f64 v[48:49], v[34:35], v[80:81]
	;; [unrolled: 1-line block ×4, first 2 shown]
	v_fma_f64 v[26:27], v[94:95], s[22:23], -v[32:33]
	v_mul_f64 v[22:23], v[22:23], s[6:7]
	v_add_f64 v[44:45], v[4:5], v[8:9]
	v_add_f64 v[12:13], v[12:13], v[40:41]
	;; [unrolled: 1-line block ×3, first 2 shown]
	v_fma_f64 v[26:27], s[34:35], v[96:97], v[22:23]
	v_mul_f64 v[32:33], v[24:25], s[12:13]
	v_fmac_f64_e32 v[22:23], s[12:13], v[96:97]
	v_add_f64 v[40:41], v[4:5], -v[8:9]
	v_add_f64 v[38:39], v[6:7], -v[10:11]
	v_mul_f64 v[4:5], v[44:45], s[36:37]
	v_fma_f64 v[24:25], s[6:7], v[94:95], v[32:33]
	v_add_f64 v[22:23], v[22:23], v[20:21]
	v_fma_f64 v[20:21], v[94:95], s[6:7], -v[32:33]
	v_add_f64 v[32:33], v[6:7], v[10:11]
	v_fma_f64 v[6:7], s[40:41], v[38:39], v[4:5]
	v_add_f64 v[8:9], v[6:7], v[98:99]
	v_mul_f64 v[6:7], v[40:41], s[38:39]
	v_fma_f64 v[10:11], s[36:37], v[32:33], v[6:7]
	v_fma_f64 v[6:7], v[32:33], s[36:37], -v[6:7]
	v_fmac_f64_e32 v[4:5], s[38:39], v[38:39]
	v_add_f64 v[6:7], v[6:7], v[60:61]
	v_mul_f64 v[60:61], v[44:45], s[22:23]
	v_add_f64 v[4:5], v[4:5], v[62:63]
	v_fma_f64 v[62:63], s[42:43], v[38:39], v[60:61]
	v_add_f64 v[16:17], v[62:63], v[16:17]
	v_mul_f64 v[62:63], v[40:41], s[24:25]
	v_fmac_f64_e32 v[60:61], s[24:25], v[38:39]
	v_fma_f64 v[68:69], s[22:23], v[32:33], v[62:63]
	v_add_f64 v[12:13], v[60:61], v[12:13]
	v_fma_f64 v[60:61], v[32:33], s[22:23], -v[62:63]
	v_mul_f64 v[62:63], v[44:45], s[20:21]
	v_add_f64 v[18:19], v[68:69], v[18:19]
	v_add_f64 v[14:15], v[60:61], v[14:15]
	v_fma_f64 v[60:61], s[44:45], v[38:39], v[62:63]
	v_mul_f64 v[68:69], v[40:41], s[30:31]
	v_add_f64 v[58:59], v[60:61], v[58:59]
	v_fma_f64 v[60:61], s[20:21], v[32:33], v[68:69]
	v_fmac_f64_e32 v[62:63], s[30:31], v[38:39]
	v_add_f64 v[60:61], v[60:61], v[56:57]
	v_add_f64 v[54:55], v[62:63], v[54:55]
	v_fma_f64 v[56:57], v[32:33], s[20:21], -v[68:69]
	v_mul_f64 v[62:63], v[44:45], s[8:9]
	v_add_f64 v[56:57], v[56:57], v[52:53]
	v_fma_f64 v[52:53], s[26:27], v[38:39], v[62:63]
	v_mul_f64 v[68:69], v[40:41], s[14:15]
	v_add_f64 v[50:51], v[52:53], v[50:51]
	v_fma_f64 v[52:53], s[8:9], v[32:33], v[68:69]
	v_add_f64 v[52:53], v[52:53], v[48:49]
	v_fma_f64 v[48:49], v[32:33], s[8:9], -v[68:69]
	v_fmac_f64_e32 v[62:63], s[14:15], v[38:39]
	v_add_f64 v[48:49], v[48:49], v[42:43]
	v_mul_f64 v[42:43], v[44:45], s[6:7]
	v_add_f64 v[46:47], v[62:63], v[46:47]
	v_fma_f64 v[62:63], s[34:35], v[38:39], v[42:43]
	v_add_f64 v[70:71], v[62:63], v[36:37]
	v_mul_f64 v[36:37], v[40:41], s[12:13]
	v_fma_f64 v[62:63], s[6:7], v[32:33], v[36:37]
	v_fmac_f64_e32 v[42:43], s[12:13], v[38:39]
	v_add_f64 v[72:73], v[62:63], v[34:35]
	v_add_f64 v[34:35], v[42:43], v[30:31]
	v_fma_f64 v[30:31], v[32:33], s[6:7], -v[36:37]
	v_add_f64 v[36:37], v[30:31], v[28:29]
	v_mul_f64 v[30:31], v[44:45], s[0:1]
	v_add_f64 v[26:27], v[26:27], v[86:87]
	v_fma_f64 v[28:29], s[28:29], v[38:39], v[30:31]
	v_mul_f64 v[40:41], v[40:41], s[2:3]
	v_add_f64 v[24:25], v[24:25], v[88:89]
	v_add_f64 v[26:27], v[28:29], v[26:27]
	v_fma_f64 v[28:29], s[0:1], v[32:33], v[40:41]
	s_movk_i32 s33, 0xd0
	v_add_f64 v[20:21], v[20:21], v[92:93]
	v_add_f64 v[28:29], v[28:29], v[24:25]
	v_fmac_f64_e32 v[30:31], s[2:3], v[38:39]
	v_fma_f64 v[24:25], v[32:33], s[0:1], -v[40:41]
	v_mad_u32_u24 v68, v82, s33, 0
	s_movk_i32 s33, 0x4f
	s_load_dwordx2 s[18:19], s[18:19], 0x0
	v_add_f64 v[10:11], v[10:11], v[100:101]
	v_add_f64 v[22:23], v[30:31], v[22:23]
	;; [unrolled: 1-line block ×3, first 2 shown]
	ds_write_b128 v68, v[0:3]
	ds_write_b128 v68, v[8:11] offset:16
	ds_write_b128 v68, v[16:19] offset:32
	;; [unrolled: 1-line block ×12, first 2 shown]
	v_mul_lo_u16_sdwa v0, v82, s33 dst_sel:DWORD dst_unused:UNUSED_PAD src0_sel:BYTE_0 src1_sel:DWORD
	v_lshrrev_b16_e32 v57, 10, v0
	v_mul_lo_u16_e32 v0, 13, v57
	v_sub_u16_e32 v56, v82, v0
	v_mov_b32_e32 v0, 12
	v_mul_u32_u24_sdwa v0, v56, v0 dst_sel:DWORD dst_unused:UNUSED_PAD src0_sel:BYTE_0 src1_sel:DWORD
	v_lshlrev_b32_e32 v0, 4, v0
	s_waitcnt lgkmcnt(0)
	; wave barrier
	s_waitcnt lgkmcnt(0)
	global_load_dwordx4 v[4:7], v0, s[4:5]
	global_load_dwordx4 v[8:11], v0, s[4:5] offset:16
	global_load_dwordx4 v[12:15], v0, s[4:5] offset:32
	;; [unrolled: 1-line block ×11, first 2 shown]
	v_lshl_add_u32 v59, v84, 4, 0
	ds_read_b128 v[24:27], v59
	v_lshl_add_u32 v58, v85, 4, 0
	ds_read_b128 v[32:35], v58
	s_movk_i32 s33, 0xff40
	v_mad_i32_i24 v60, v82, s33, v68
	v_lshl_add_u32 v69, v83, 4, 0
	ds_read_b128 v[0:3], v60
	ds_read_b128 v[78:81], v69
	ds_read_b128 v[86:89], v60 offset:9984
	s_waitcnt vmcnt(11) lgkmcnt(4)
	v_mul_f64 v[40:41], v[26:27], v[6:7]
	v_fma_f64 v[62:63], v[24:25], v[4:5], -v[40:41]
	v_mul_f64 v[98:99], v[24:25], v[6:7]
	s_waitcnt vmcnt(10) lgkmcnt(3)
	v_mul_f64 v[24:25], v[34:35], v[10:11]
	v_mul_f64 v[40:41], v[32:33], v[10:11]
	v_fmac_f64_e32 v[98:99], v[26:27], v[4:5]
	ds_read_b128 v[4:7], v60 offset:3328
	ds_read_b128 v[90:93], v60 offset:4160
	v_fma_f64 v[42:43], v[32:33], v[8:9], -v[24:25]
	v_fmac_f64_e32 v[40:41], v[34:35], v[8:9]
	s_waitcnt vmcnt(9) lgkmcnt(3)
	v_mul_f64 v[8:9], v[80:81], v[14:15]
	v_mul_f64 v[32:33], v[78:79], v[14:15]
	v_fma_f64 v[34:35], v[78:79], v[12:13], -v[8:9]
	v_fmac_f64_e32 v[32:33], v[80:81], v[12:13]
	ds_read_b128 v[12:15], v60 offset:4992
	ds_read_b128 v[78:81], v60 offset:5824
	s_waitcnt vmcnt(8) lgkmcnt(3)
	v_mul_f64 v[8:9], v[6:7], v[18:19]
	v_mul_f64 v[24:25], v[4:5], v[18:19]
	v_fma_f64 v[26:27], v[4:5], v[16:17], -v[8:9]
	v_fmac_f64_e32 v[24:25], v[6:7], v[16:17]
	s_waitcnt vmcnt(7) lgkmcnt(2)
	v_mul_f64 v[4:5], v[92:93], v[22:23]
	v_mul_f64 v[16:17], v[90:91], v[22:23]
	s_waitcnt vmcnt(6) lgkmcnt(1)
	v_mul_f64 v[8:9], v[14:15], v[30:31]
	v_fma_f64 v[18:19], v[90:91], v[20:21], -v[4:5]
	v_fmac_f64_e32 v[16:17], v[92:93], v[20:21]
	ds_read_b128 v[4:7], v60 offset:6656
	ds_read_b128 v[90:93], v60 offset:7488
	v_fma_f64 v[10:11], v[12:13], v[28:29], -v[8:9]
	v_mul_f64 v[8:9], v[12:13], v[30:31]
	s_waitcnt vmcnt(5) lgkmcnt(2)
	v_mul_f64 v[12:13], v[80:81], v[38:39]
	v_fmac_f64_e32 v[8:9], v[14:15], v[28:29]
	v_fma_f64 v[14:15], v[78:79], v[36:37], -v[12:13]
	v_mul_f64 v[12:13], v[78:79], v[38:39]
	v_fmac_f64_e32 v[12:13], v[80:81], v[36:37]
	ds_read_b128 v[78:81], v60 offset:8320
	ds_read_b128 v[94:97], v60 offset:9152
	s_waitcnt vmcnt(4) lgkmcnt(3)
	v_mul_f64 v[20:21], v[6:7], v[46:47]
	v_fma_f64 v[22:23], v[4:5], v[44:45], -v[20:21]
	v_mul_f64 v[20:21], v[4:5], v[46:47]
	s_waitcnt vmcnt(3) lgkmcnt(2)
	v_mul_f64 v[4:5], v[92:93], v[50:51]
	v_fma_f64 v[30:31], v[90:91], v[48:49], -v[4:5]
	s_waitcnt vmcnt(2) lgkmcnt(1)
	v_mul_f64 v[4:5], v[80:81], v[54:55]
	v_fma_f64 v[38:39], v[78:79], v[52:53], -v[4:5]
	s_waitcnt vmcnt(1) lgkmcnt(0)
	v_mul_f64 v[4:5], v[96:97], v[72:73]
	v_fmac_f64_e32 v[20:21], v[6:7], v[44:45]
	v_mul_f64 v[28:29], v[90:91], v[50:51]
	v_fma_f64 v[44:45], v[94:95], v[70:71], -v[4:5]
	s_waitcnt vmcnt(0)
	v_mul_f64 v[4:5], v[88:89], v[76:77]
	v_add_f64 v[6:7], v[2:3], v[98:99]
	v_fmac_f64_e32 v[28:29], v[92:93], v[48:49]
	v_fma_f64 v[48:49], v[86:87], v[74:75], -v[4:5]
	v_add_f64 v[4:5], v[0:1], v[62:63]
	v_add_f64 v[6:7], v[6:7], v[40:41]
	v_add_f64 v[4:5], v[4:5], v[42:43]
	v_add_f64 v[6:7], v[6:7], v[32:33]
	v_add_f64 v[4:5], v[4:5], v[34:35]
	v_add_f64 v[6:7], v[6:7], v[24:25]
	v_add_f64 v[4:5], v[4:5], v[26:27]
	v_add_f64 v[6:7], v[6:7], v[16:17]
	v_add_f64 v[4:5], v[4:5], v[18:19]
	v_add_f64 v[6:7], v[6:7], v[8:9]
	v_add_f64 v[4:5], v[4:5], v[10:11]
	v_add_f64 v[6:7], v[6:7], v[12:13]
	v_mul_f64 v[36:37], v[78:79], v[54:55]
	v_add_f64 v[4:5], v[4:5], v[14:15]
	v_add_f64 v[6:7], v[6:7], v[20:21]
	v_fmac_f64_e32 v[36:37], v[80:81], v[52:53]
	v_mul_f64 v[46:47], v[94:95], v[72:73]
	v_add_f64 v[4:5], v[4:5], v[22:23]
	v_add_f64 v[6:7], v[6:7], v[28:29]
	v_fmac_f64_e32 v[46:47], v[96:97], v[70:71]
	v_mul_f64 v[50:51], v[86:87], v[76:77]
	v_add_f64 v[4:5], v[4:5], v[30:31]
	v_add_f64 v[6:7], v[6:7], v[36:37]
	v_fmac_f64_e32 v[50:51], v[88:89], v[74:75]
	v_add_f64 v[4:5], v[4:5], v[38:39]
	v_add_f64 v[6:7], v[6:7], v[46:47]
	;; [unrolled: 1-line block ×5, first 2 shown]
	v_add_f64 v[50:51], v[98:99], -v[50:51]
	v_add_f64 v[4:5], v[4:5], v[48:49]
	v_add_f64 v[52:53], v[62:63], v[48:49]
	v_add_f64 v[48:49], v[62:63], -v[48:49]
	v_mul_f64 v[62:63], v[50:51], s[42:43]
	v_mul_f64 v[72:73], v[50:51], s[26:27]
	;; [unrolled: 1-line block ×6, first 2 shown]
	v_fma_f64 v[70:71], v[52:53], s[22:23], -v[62:63]
	v_fmac_f64_e32 v[62:63], s[22:23], v[52:53]
	v_fma_f64 v[74:75], v[52:53], s[8:9], -v[72:73]
	v_fmac_f64_e32 v[72:73], s[8:9], v[52:53]
	;; [unrolled: 2-line block ×6, first 2 shown]
	v_mul_f64 v[52:53], v[48:49], s[42:43]
	v_mul_f64 v[96:97], v[48:49], s[26:27]
	;; [unrolled: 1-line block ×6, first 2 shown]
	v_fma_f64 v[94:95], s[22:23], v[54:55], v[52:53]
	v_fma_f64 v[52:53], v[54:55], s[22:23], -v[52:53]
	v_fma_f64 v[98:99], s[8:9], v[54:55], v[96:97]
	v_fma_f64 v[96:97], v[54:55], s[8:9], -v[96:97]
	;; [unrolled: 2-line block ×6, first 2 shown]
	v_add_f64 v[54:55], v[0:1], v[70:71]
	v_add_f64 v[70:71], v[2:3], v[94:95]
	;; [unrolled: 1-line block ×14, first 2 shown]
	v_add_f64 v[42:43], v[42:43], -v[44:45]
	v_add_f64 v[44:45], v[40:41], v[46:47]
	v_add_f64 v[40:41], v[40:41], -v[46:47]
	v_mul_f64 v[46:47], v[40:41], s[26:27]
	v_add_f64 v[62:63], v[0:1], v[62:63]
	v_add_f64 v[74:75], v[0:1], v[74:75]
	;; [unrolled: 1-line block ×11, first 2 shown]
	v_fma_f64 v[50:51], v[48:49], s[8:9], -v[46:47]
	v_add_f64 v[50:51], v[50:51], v[54:55]
	v_mul_f64 v[54:55], v[42:43], s[26:27]
	v_fma_f64 v[112:113], s[8:9], v[44:45], v[54:55]
	v_fma_f64 v[54:55], v[44:45], s[8:9], -v[54:55]
	v_fmac_f64_e32 v[46:47], s[8:9], v[48:49]
	v_add_f64 v[52:53], v[54:55], v[52:53]
	v_mul_f64 v[54:55], v[40:41], s[12:13]
	v_add_f64 v[46:47], v[46:47], v[62:63]
	v_fma_f64 v[62:63], v[48:49], s[6:7], -v[54:55]
	v_add_f64 v[62:63], v[62:63], v[74:75]
	v_mul_f64 v[74:75], v[42:43], s[12:13]
	v_fmac_f64_e32 v[54:55], s[6:7], v[48:49]
	v_add_f64 v[70:71], v[112:113], v[70:71]
	v_fma_f64 v[112:113], s[6:7], v[44:45], v[74:75]
	v_add_f64 v[54:55], v[54:55], v[72:73]
	v_fma_f64 v[72:73], v[44:45], s[6:7], -v[74:75]
	v_mul_f64 v[74:75], v[40:41], s[38:39]
	v_add_f64 v[72:73], v[72:73], v[96:97]
	v_fma_f64 v[96:97], v[48:49], s[36:37], -v[74:75]
	v_add_f64 v[78:79], v[96:97], v[78:79]
	v_mul_f64 v[96:97], v[42:43], s[38:39]
	v_fmac_f64_e32 v[74:75], s[36:37], v[48:49]
	v_add_f64 v[94:95], v[112:113], v[94:95]
	v_fma_f64 v[112:113], s[36:37], v[44:45], v[96:97]
	v_add_f64 v[74:75], v[74:75], v[76:77]
	v_fma_f64 v[76:77], v[44:45], s[36:37], -v[96:97]
	;; [unrolled: 10-line block ×3, first 2 shown]
	v_mul_f64 v[100:101], v[40:41], s[2:3]
	v_add_f64 v[96:97], v[96:97], v[104:105]
	v_fma_f64 v[104:105], v[48:49], s[0:1], -v[100:101]
	v_add_f64 v[90:91], v[104:105], v[90:91]
	v_mul_f64 v[104:105], v[42:43], s[2:3]
	v_fmac_f64_e32 v[100:101], s[0:1], v[48:49]
	v_mul_f64 v[40:41], v[40:41], s[24:25]
	v_add_f64 v[102:103], v[112:113], v[102:103]
	v_fma_f64 v[112:113], s[0:1], v[44:45], v[104:105]
	v_add_f64 v[88:89], v[100:101], v[88:89]
	v_fma_f64 v[100:101], v[44:45], s[0:1], -v[104:105]
	v_fma_f64 v[104:105], v[48:49], s[22:23], -v[40:41]
	v_mul_f64 v[42:43], v[42:43], s[24:25]
	v_fmac_f64_e32 v[40:41], s[22:23], v[48:49]
	v_add_f64 v[0:1], v[40:41], v[0:1]
	v_fma_f64 v[40:41], v[44:45], s[22:23], -v[42:43]
	v_add_f64 v[2:3], v[40:41], v[2:3]
	v_add_f64 v[40:41], v[34:35], v[38:39]
	v_add_f64 v[34:35], v[34:35], -v[38:39]
	v_add_f64 v[38:39], v[32:33], v[36:37]
	v_add_f64 v[32:33], v[32:33], -v[36:37]
	v_mul_f64 v[36:37], v[32:33], s[28:29]
	v_add_f64 v[92:93], v[104:105], v[92:93]
	v_fma_f64 v[104:105], s[22:23], v[44:45], v[42:43]
	v_fma_f64 v[42:43], v[40:41], s[0:1], -v[36:37]
	v_mul_f64 v[44:45], v[34:35], s[28:29]
	v_fmac_f64_e32 v[36:37], s[0:1], v[40:41]
	v_fma_f64 v[48:49], s[0:1], v[38:39], v[44:45]
	v_add_f64 v[36:37], v[36:37], v[46:47]
	v_fma_f64 v[44:45], v[38:39], s[0:1], -v[44:45]
	v_mul_f64 v[46:47], v[32:33], s[38:39]
	v_add_f64 v[42:43], v[42:43], v[50:51]
	v_add_f64 v[44:45], v[44:45], v[52:53]
	v_fma_f64 v[50:51], v[40:41], s[36:37], -v[46:47]
	v_mul_f64 v[52:53], v[34:35], s[38:39]
	v_fmac_f64_e32 v[46:47], s[36:37], v[40:41]
	v_add_f64 v[50:51], v[50:51], v[62:63]
	v_fma_f64 v[62:63], s[36:37], v[38:39], v[52:53]
	v_add_f64 v[46:47], v[46:47], v[54:55]
	v_fma_f64 v[52:53], v[38:39], s[36:37], -v[52:53]
	v_mul_f64 v[54:55], v[32:33], s[34:35]
	v_add_f64 v[48:49], v[48:49], v[70:71]
	v_add_f64 v[52:53], v[52:53], v[72:73]
	v_fma_f64 v[70:71], v[40:41], s[6:7], -v[54:55]
	v_mul_f64 v[72:73], v[34:35], s[34:35]
	v_fmac_f64_e32 v[54:55], s[6:7], v[40:41]
	v_add_f64 v[70:71], v[70:71], v[78:79]
	v_fma_f64 v[78:79], s[6:7], v[38:39], v[72:73]
	v_add_f64 v[54:55], v[54:55], v[74:75]
	v_fma_f64 v[72:73], v[38:39], s[6:7], -v[72:73]
	v_mul_f64 v[74:75], v[32:33], s[24:25]
	v_add_f64 v[72:73], v[72:73], v[76:77]
	v_fma_f64 v[76:77], v[40:41], s[22:23], -v[74:75]
	v_add_f64 v[76:77], v[76:77], v[86:87]
	v_mul_f64 v[86:87], v[34:35], s[24:25]
	v_fmac_f64_e32 v[74:75], s[22:23], v[40:41]
	v_add_f64 v[62:63], v[62:63], v[94:95]
	v_fma_f64 v[94:95], s[22:23], v[38:39], v[86:87]
	v_add_f64 v[74:75], v[74:75], v[80:81]
	v_fma_f64 v[80:81], v[38:39], s[22:23], -v[86:87]
	v_mul_f64 v[86:87], v[32:33], s[26:27]
	v_add_f64 v[80:81], v[80:81], v[96:97]
	v_fma_f64 v[96:97], v[40:41], s[8:9], -v[86:87]
	v_add_f64 v[90:91], v[96:97], v[90:91]
	v_mul_f64 v[96:97], v[34:35], s[26:27]
	v_fmac_f64_e32 v[86:87], s[8:9], v[40:41]
	v_mul_f64 v[32:33], v[32:33], s[30:31]
	v_add_f64 v[78:79], v[78:79], v[98:99]
	v_fma_f64 v[98:99], s[8:9], v[38:39], v[96:97]
	v_add_f64 v[86:87], v[86:87], v[88:89]
	v_fma_f64 v[88:89], v[38:39], s[8:9], -v[96:97]
	v_fma_f64 v[96:97], v[40:41], s[20:21], -v[32:33]
	v_mul_f64 v[34:35], v[34:35], s[30:31]
	v_fmac_f64_e32 v[32:33], s[20:21], v[40:41]
	v_add_f64 v[0:1], v[32:33], v[0:1]
	v_fma_f64 v[32:33], v[38:39], s[20:21], -v[34:35]
	v_add_f64 v[2:3], v[32:33], v[2:3]
	v_add_f64 v[32:33], v[26:27], v[30:31]
	v_add_f64 v[26:27], v[26:27], -v[30:31]
	v_add_f64 v[30:31], v[24:25], v[28:29]
	v_add_f64 v[24:25], v[24:25], -v[28:29]
	v_mul_f64 v[28:29], v[24:25], s[12:13]
	v_add_f64 v[92:93], v[96:97], v[92:93]
	v_fma_f64 v[96:97], s[20:21], v[38:39], v[34:35]
	v_fma_f64 v[34:35], v[32:33], s[6:7], -v[28:29]
	v_mul_f64 v[38:39], v[26:27], s[12:13]
	v_fmac_f64_e32 v[28:29], s[6:7], v[32:33]
	v_fma_f64 v[40:41], s[6:7], v[30:31], v[38:39]
	v_add_f64 v[28:29], v[28:29], v[36:37]
	v_fma_f64 v[36:37], v[30:31], s[6:7], -v[38:39]
	v_mul_f64 v[38:39], v[24:25], s[44:45]
	v_add_f64 v[34:35], v[34:35], v[42:43]
	v_add_f64 v[36:37], v[36:37], v[44:45]
	v_fma_f64 v[42:43], v[32:33], s[20:21], -v[38:39]
	v_mul_f64 v[44:45], v[26:27], s[44:45]
	v_fmac_f64_e32 v[38:39], s[20:21], v[32:33]
	v_add_f64 v[40:41], v[40:41], v[48:49]
	v_fma_f64 v[48:49], s[20:21], v[30:31], v[44:45]
	v_add_f64 v[38:39], v[38:39], v[46:47]
	v_fma_f64 v[44:45], v[30:31], s[20:21], -v[44:45]
	v_mul_f64 v[46:47], v[24:25], s[24:25]
	v_add_f64 v[42:43], v[42:43], v[50:51]
	v_add_f64 v[44:45], v[44:45], v[52:53]
	v_fma_f64 v[50:51], v[32:33], s[22:23], -v[46:47]
	v_mul_f64 v[52:53], v[26:27], s[24:25]
	v_fmac_f64_e32 v[46:47], s[22:23], v[32:33]
	v_add_f64 v[48:49], v[48:49], v[62:63]
	;; [unrolled: 10-line block ×3, first 2 shown]
	v_fma_f64 v[54:55], v[30:31], s[0:1], -v[72:73]
	v_add_f64 v[70:71], v[70:71], v[76:77]
	v_fma_f64 v[76:77], s[0:1], v[30:31], v[72:73]
	v_add_f64 v[72:73], v[54:55], v[80:81]
	v_mul_f64 v[54:55], v[24:25], s[40:41]
	v_add_f64 v[100:101], v[100:101], v[108:109]
	v_add_f64 v[62:63], v[62:63], v[78:79]
	v_fma_f64 v[78:79], v[32:33], s[36:37], -v[54:55]
	v_mul_f64 v[80:81], v[26:27], s[40:41]
	v_fmac_f64_e32 v[54:55], s[36:37], v[32:33]
	v_add_f64 v[88:89], v[88:89], v[100:101]
	v_add_f64 v[86:87], v[54:55], v[86:87]
	v_fma_f64 v[54:55], v[30:31], s[36:37], -v[80:81]
	v_mul_f64 v[24:25], v[24:25], s[14:15]
	v_add_f64 v[78:79], v[78:79], v[90:91]
	v_fma_f64 v[90:91], s[36:37], v[30:31], v[80:81]
	v_add_f64 v[80:81], v[54:55], v[88:89]
	v_fma_f64 v[54:55], v[32:33], s[8:9], -v[24:25]
	v_mul_f64 v[26:27], v[26:27], s[14:15]
	v_fmac_f64_e32 v[24:25], s[8:9], v[32:33]
	v_add_f64 v[0:1], v[24:25], v[0:1]
	v_fma_f64 v[24:25], v[30:31], s[8:9], -v[26:27]
	v_add_f64 v[94:95], v[94:95], v[102:103]
	v_add_f64 v[2:3], v[24:25], v[2:3]
	;; [unrolled: 1-line block ×3, first 2 shown]
	v_add_f64 v[18:19], v[18:19], -v[22:23]
	v_add_f64 v[106:107], v[112:113], v[106:107]
	v_add_f64 v[76:77], v[76:77], v[94:95]
	;; [unrolled: 1-line block ×3, first 2 shown]
	v_fma_f64 v[54:55], s[8:9], v[30:31], v[26:27]
	v_add_f64 v[94:95], v[16:17], v[20:21]
	v_add_f64 v[16:17], v[16:17], -v[20:21]
	v_mul_f64 v[26:27], v[18:19], s[30:31]
	v_add_f64 v[98:99], v[98:99], v[106:107]
	v_mul_f64 v[20:21], v[16:17], s[30:31]
	v_fma_f64 v[30:31], s[20:21], v[94:95], v[26:27]
	v_fma_f64 v[26:27], v[94:95], s[20:21], -v[26:27]
	v_add_f64 v[90:91], v[90:91], v[98:99]
	v_fma_f64 v[22:23], v[24:25], s[20:21], -v[20:21]
	v_fmac_f64_e32 v[20:21], s[20:21], v[24:25]
	v_add_f64 v[98:99], v[26:27], v[36:37]
	v_mul_f64 v[26:27], v[16:17], s[2:3]
	v_add_f64 v[20:21], v[20:21], v[28:29]
	v_fma_f64 v[28:29], v[24:25], s[0:1], -v[26:27]
	v_add_f64 v[104:105], v[104:105], v[110:111]
	v_add_f64 v[100:101], v[28:29], v[42:43]
	v_mul_f64 v[28:29], v[18:19], s[2:3]
	v_fmac_f64_e32 v[26:27], s[0:1], v[24:25]
	v_add_f64 v[96:97], v[96:97], v[104:105]
	v_add_f64 v[104:105], v[26:27], v[38:39]
	v_fma_f64 v[26:27], v[94:95], s[0:1], -v[28:29]
	v_add_f64 v[106:107], v[26:27], v[44:45]
	v_mul_f64 v[26:27], v[16:17], s[26:27]
	v_add_f64 v[92:93], v[54:55], v[96:97]
	v_add_f64 v[96:97], v[30:31], v[40:41]
	v_fma_f64 v[30:31], s[0:1], v[94:95], v[28:29]
	v_fma_f64 v[28:29], v[24:25], s[8:9], -v[26:27]
	v_add_f64 v[108:109], v[28:29], v[50:51]
	v_mul_f64 v[28:29], v[18:19], s[26:27]
	v_fmac_f64_e32 v[26:27], s[8:9], v[24:25]
	v_add_f64 v[110:111], v[26:27], v[46:47]
	v_fma_f64 v[26:27], v[94:95], s[8:9], -v[28:29]
	v_add_f64 v[112:113], v[26:27], v[52:53]
	v_mul_f64 v[26:27], v[16:17], s[40:41]
	v_add_f64 v[102:103], v[30:31], v[48:49]
	v_fma_f64 v[30:31], s[8:9], v[94:95], v[28:29]
	v_fma_f64 v[28:29], v[24:25], s[36:37], -v[26:27]
	v_add_f64 v[54:55], v[28:29], v[70:71]
	v_mul_f64 v[28:29], v[18:19], s[40:41]
	v_fmac_f64_e32 v[26:27], s[36:37], v[24:25]
	v_add_f64 v[50:51], v[26:27], v[74:75]
	v_fma_f64 v[26:27], v[94:95], s[36:37], -v[28:29]
	v_add_f64 v[46:47], v[26:27], v[72:73]
	v_mul_f64 v[26:27], v[16:17], s[24:25]
	v_add_f64 v[62:63], v[30:31], v[62:63]
	v_fma_f64 v[30:31], s[36:37], v[94:95], v[28:29]
	v_fma_f64 v[28:29], v[24:25], s[22:23], -v[26:27]
	v_add_f64 v[42:43], v[28:29], v[78:79]
	v_mul_f64 v[28:29], v[18:19], s[24:25]
	v_fmac_f64_e32 v[26:27], s[22:23], v[24:25]
	v_add_f64 v[22:23], v[22:23], v[34:35]
	v_add_f64 v[34:35], v[26:27], v[86:87]
	v_fma_f64 v[26:27], v[94:95], s[22:23], -v[28:29]
	v_mul_f64 v[16:17], v[16:17], s[12:13]
	v_add_f64 v[52:53], v[30:31], v[76:77]
	v_fma_f64 v[30:31], s[22:23], v[94:95], v[28:29]
	v_add_f64 v[32:33], v[26:27], v[80:81]
	v_fma_f64 v[26:27], v[24:25], s[6:7], -v[16:17]
	v_mul_f64 v[18:19], v[18:19], s[12:13]
	v_add_f64 v[40:41], v[30:31], v[90:91]
	v_add_f64 v[30:31], v[26:27], v[88:89]
	v_fma_f64 v[26:27], s[6:7], v[94:95], v[18:19]
	v_fmac_f64_e32 v[16:17], s[6:7], v[24:25]
	v_add_f64 v[28:29], v[26:27], v[92:93]
	v_add_f64 v[26:27], v[16:17], v[0:1]
	v_fma_f64 v[0:1], v[94:95], s[6:7], -v[18:19]
	v_add_f64 v[48:49], v[8:9], -v[12:13]
	v_add_f64 v[24:25], v[0:1], v[2:3]
	v_add_f64 v[38:39], v[10:11], v[14:15]
	v_mul_f64 v[0:1], v[48:49], s[38:39]
	v_fma_f64 v[2:3], v[38:39], s[36:37], -v[0:1]
	v_fmac_f64_e32 v[0:1], s[36:37], v[38:39]
	v_add_f64 v[0:1], v[0:1], v[20:21]
	v_mul_f64 v[20:21], v[48:49], s[30:31]
	v_add_f64 v[36:37], v[8:9], v[12:13]
	v_add_f64 v[44:45], v[10:11], -v[14:15]
	v_add_f64 v[8:9], v[2:3], v[22:23]
	v_fma_f64 v[22:23], v[38:39], s[20:21], -v[20:21]
	v_add_f64 v[70:71], v[22:23], v[108:109]
	v_mul_f64 v[22:23], v[44:45], s[30:31]
	v_fma_f64 v[72:73], s[20:21], v[36:37], v[22:23]
	v_add_f64 v[72:73], v[72:73], v[62:63]
	v_mul_f64 v[62:63], v[48:49], s[14:15]
	v_fma_f64 v[74:75], v[38:39], s[8:9], -v[62:63]
	v_add_f64 v[74:75], v[74:75], v[54:55]
	v_mul_f64 v[54:55], v[44:45], s[14:15]
	v_fma_f64 v[76:77], s[8:9], v[36:37], v[54:55]
	v_add_f64 v[76:77], v[76:77], v[52:53]
	v_fma_f64 v[52:53], v[36:37], s[8:9], -v[54:55]
	v_add_f64 v[52:53], v[52:53], v[46:47]
	v_mul_f64 v[46:47], v[48:49], s[12:13]
	v_fma_f64 v[54:55], v[38:39], s[6:7], -v[46:47]
	v_add_f64 v[78:79], v[54:55], v[42:43]
	v_mul_f64 v[42:43], v[44:45], s[12:13]
	v_fma_f64 v[54:55], s[6:7], v[36:37], v[42:43]
	v_fmac_f64_e32 v[46:47], s[6:7], v[38:39]
	v_mul_f64 v[12:13], v[48:49], s[24:25]
	v_add_f64 v[80:81], v[54:55], v[40:41]
	v_add_f64 v[40:41], v[46:47], v[34:35]
	v_fma_f64 v[34:35], v[36:37], s[6:7], -v[42:43]
	v_fma_f64 v[14:15], v[38:39], s[22:23], -v[12:13]
	v_add_f64 v[42:43], v[34:35], v[32:33]
	v_mul_f64 v[34:35], v[48:49], s[2:3]
	v_mul_f64 v[2:3], v[44:45], s[38:39]
	v_add_f64 v[16:17], v[14:15], v[100:101]
	v_mul_f64 v[14:15], v[44:45], s[24:25]
	v_fma_f64 v[32:33], v[38:39], s[0:1], -v[34:35]
	v_mul_f64 v[44:45], v[44:45], s[2:3]
	v_add_f64 v[30:31], v[32:33], v[30:31]
	v_fma_f64 v[32:33], s[0:1], v[36:37], v[44:45]
	v_add_f64 v[32:33], v[32:33], v[28:29]
	v_fma_f64 v[28:29], v[36:37], s[0:1], -v[44:45]
	v_add_f64 v[28:29], v[28:29], v[24:25]
	v_mov_b32_e32 v25, 4
	v_fma_f64 v[18:19], s[22:23], v[36:37], v[14:15]
	v_fmac_f64_e32 v[20:21], s[20:21], v[38:39]
	v_fma_f64 v[22:23], v[36:37], s[20:21], -v[22:23]
	v_fmac_f64_e32 v[62:63], s[8:9], v[38:39]
	v_fmac_f64_e32 v[34:35], s[0:1], v[38:39]
	v_mul_u32_u24_e32 v24, 0xa90, v57
	v_lshlrev_b32_sdwa v25, v25, v56 dst_sel:DWORD dst_unused:UNUSED_PAD src0_sel:DWORD src1_sel:BYTE_0
	v_fma_f64 v[10:11], s[36:37], v[36:37], v[2:3]
	v_fma_f64 v[2:3], v[36:37], s[36:37], -v[2:3]
	v_add_f64 v[18:19], v[18:19], v[102:103]
	v_fmac_f64_e32 v[12:13], s[22:23], v[38:39]
	v_fma_f64 v[14:15], v[36:37], s[22:23], -v[14:15]
	v_add_f64 v[20:21], v[20:21], v[110:111]
	v_add_f64 v[22:23], v[22:23], v[112:113]
	;; [unrolled: 1-line block ×4, first 2 shown]
	v_add3_u32 v24, 0, v24, v25
	v_add_f64 v[10:11], v[10:11], v[96:97]
	v_add_f64 v[2:3], v[2:3], v[98:99]
	;; [unrolled: 1-line block ×4, first 2 shown]
	s_waitcnt lgkmcnt(0)
	; wave barrier
	ds_write_b128 v24, v[4:7]
	ds_write_b128 v24, v[8:11] offset:208
	ds_write_b128 v24, v[16:19] offset:416
	;; [unrolled: 1-line block ×12, first 2 shown]
	s_waitcnt lgkmcnt(0)
	; wave barrier
	s_waitcnt lgkmcnt(0)
	ds_read_b128 v[16:19], v60
	ds_read_b128 v[20:23], v60 offset:2704
	ds_read_b128 v[40:43], v60 offset:5408
	;; [unrolled: 1-line block ×3, first 2 shown]
	ds_read_b128 v[28:31], v59
	ds_read_b128 v[32:35], v58
	ds_read_b128 v[44:47], v60 offset:3536
	ds_read_b128 v[52:55], v60 offset:4368
	;; [unrolled: 1-line block ×6, first 2 shown]
	v_cmp_gt_u32_e64 s[0:1], 13, v82
                                        ; implicit-def: $vgpr6_vgpr7
                                        ; implicit-def: $vgpr10_vgpr11
                                        ; implicit-def: $vgpr14_vgpr15
	s_and_saveexec_b64 s[2:3], s[0:1]
	s_cbranch_execz .LBB0_15
; %bb.14:
	v_mul_i32_i24_e32 v0, 0xffffff40, v82
	v_add_u32_e32 v12, v68, v0
	ds_read_b128 v[0:3], v69
	ds_read_b128 v[4:7], v12 offset:5200
	ds_read_b128 v[8:11], v12 offset:7904
	;; [unrolled: 1-line block ×3, first 2 shown]
.LBB0_15:
	s_or_b64 exec, exec, s[2:3]
	s_and_saveexec_b64 s[2:3], vcc
	s_cbranch_execz .LBB0_18
; %bb.16:
	v_mul_i32_i24_e32 v68, 3, v85
	v_mov_b32_e32 v69, 0
	v_lshl_add_u64 v[86:87], v[68:69], 4, s[4:5]
	v_mul_u32_u24_e32 v68, 3, v82
	v_lshlrev_b32_e32 v68, 4, v68
	global_load_dwordx4 v[70:73], v[86:87], off offset:2512
	global_load_dwordx4 v[74:77], v[86:87], off offset:2496
	;; [unrolled: 1-line block ×3, first 2 shown]
	s_nop 0
	global_load_dwordx4 v[86:89], v68, s[4:5] offset:2512
	global_load_dwordx4 v[90:93], v68, s[4:5] offset:2496
	;; [unrolled: 1-line block ×3, first 2 shown]
	v_mul_i32_i24_e32 v68, 3, v84
	v_lshl_add_u64 v[84:85], v[68:69], 4, s[4:5]
	global_load_dwordx4 v[98:101], v[84:85], off offset:2512
	global_load_dwordx4 v[102:105], v[84:85], off offset:2496
	;; [unrolled: 1-line block ×3, first 2 shown]
	v_mul_lo_u32 v68, s19, v66
	v_mul_lo_u32 v84, s18, v67
	v_mad_u64_u32 v[66:67], s[2:3], s18, v66, 0
	v_add3_u32 v67, v67, v84, v68
	s_mov_b32 s6, 0x60f25deb
	s_movk_i32 s7, 0xa9
	s_movk_i32 s8, 0x2a4
	s_waitcnt vmcnt(8) lgkmcnt(2)
	v_mul_f64 v[84:85], v[58:59], v[70:71]
	s_waitcnt vmcnt(7)
	v_mul_f64 v[110:111], v[54:55], v[76:77]
	v_mul_f64 v[76:77], v[52:53], v[76:77]
	s_waitcnt vmcnt(4)
	v_mul_f64 v[116:117], v[22:23], v[92:93]
	s_waitcnt lgkmcnt(0)
	v_mul_f64 v[112:113], v[62:63], v[80:81]
	v_mul_f64 v[80:81], v[60:61], v[80:81]
	v_fma_f64 v[52:53], v[52:53], v[74:75], -v[110:111]
	v_fmac_f64_e32 v[76:77], v[54:55], v[74:75]
	v_fma_f64 v[74:75], v[20:21], v[90:91], -v[116:117]
	v_mul_f64 v[20:21], v[20:21], v[92:93]
	v_mul_f64 v[58:59], v[58:59], v[72:73]
	;; [unrolled: 1-line block ×4, first 2 shown]
	v_fmac_f64_e32 v[84:85], v[56:57], v[72:73]
	v_fma_f64 v[60:61], v[60:61], v[78:79], -v[112:113]
	v_fmac_f64_e32 v[80:81], v[62:63], v[78:79]
	v_fmac_f64_e32 v[20:21], v[22:23], v[90:91]
	s_waitcnt vmcnt(3)
	v_mul_f64 v[22:23], v[24:25], v[96:97]
	v_fma_f64 v[56:57], v[56:57], v[70:71], -v[58:59]
	s_waitcnt vmcnt(2)
	v_mul_f64 v[54:55], v[38:39], v[98:99]
	s_waitcnt vmcnt(1)
	v_mul_f64 v[58:59], v[46:47], v[104:105]
	;; [unrolled: 2-line block ×3, first 2 shown]
	v_mul_f64 v[38:39], v[38:39], v[100:101]
	v_mul_f64 v[70:71], v[44:45], v[104:105]
	;; [unrolled: 1-line block ×3, first 2 shown]
	v_fmac_f64_e32 v[114:115], v[40:41], v[88:89]
	v_fma_f64 v[86:87], v[40:41], v[86:87], -v[42:43]
	v_add_f64 v[40:41], v[34:35], -v[84:85]
	v_add_f64 v[42:43], v[52:53], -v[60:61]
	;; [unrolled: 1-line block ×3, first 2 shown]
	v_fmac_f64_e32 v[22:23], v[26:27], v[94:95]
	v_mul_f64 v[118:119], v[26:27], v[96:97]
	v_fmac_f64_e32 v[54:55], v[36:37], v[100:101]
	v_fma_f64 v[58:59], v[44:45], v[102:103], -v[58:59]
	v_fma_f64 v[44:45], v[48:49], v[106:107], -v[62:63]
	;; [unrolled: 1-line block ×3, first 2 shown]
	v_fmac_f64_e32 v[70:71], v[46:47], v[102:103]
	v_fmac_f64_e32 v[72:73], v[50:51], v[106:107]
	v_add_f64 v[80:81], v[18:19], -v[114:115]
	v_fma_f64 v[34:35], v[34:35], 2.0, -v[40:41]
	v_fma_f64 v[46:47], v[76:77], 2.0, -v[60:61]
	v_add_f64 v[22:23], v[20:21], -v[22:23]
	v_fma_f64 v[78:79], v[24:25], v[94:95], -v[118:119]
	v_add_f64 v[56:57], v[32:33], -v[56:57]
	v_add_f64 v[62:63], v[30:31], -v[54:55]
	;; [unrolled: 1-line block ×5, first 2 shown]
	v_fma_f64 v[18:19], v[18:19], 2.0, -v[80:81]
	v_fma_f64 v[20:21], v[20:21], 2.0, -v[22:23]
	v_add_f64 v[78:79], v[74:75], -v[78:79]
	v_add_f64 v[36:37], v[56:57], -v[60:61]
	v_fma_f64 v[60:61], v[32:33], 2.0, -v[56:57]
	v_fma_f64 v[50:51], v[52:53], 2.0, -v[42:43]
	v_add_f64 v[52:53], v[58:59], -v[44:45]
	v_add_f64 v[48:49], v[76:77], -v[54:55]
	v_fma_f64 v[70:71], v[70:71], 2.0, -v[54:55]
	v_fma_f64 v[54:55], v[34:35], 2.0, -v[46:47]
	v_add_f64 v[34:35], v[16:17], -v[86:87]
	v_add_f64 v[20:21], v[18:19], -v[20:21]
	v_add_f64 v[44:45], v[60:61], -v[50:51]
	v_add_f64 v[50:51], v[62:63], v[52:53]
	v_fma_f64 v[30:31], v[30:31], 2.0, -v[62:63]
	v_fma_f64 v[24:25], v[18:19], 2.0, -v[20:21]
	;; [unrolled: 1-line block ×7, first 2 shown]
	v_add_f64 v[62:63], v[30:31], -v[70:71]
	v_add_f64 v[18:19], v[16:17], -v[18:19]
	v_fma_f64 v[52:53], v[60:61], 2.0, -v[44:45]
	v_add_f64 v[60:61], v[84:85], -v[72:73]
	v_fma_f64 v[72:73], v[30:31], 2.0, -v[62:63]
	;; [unrolled: 2-line block ×3, first 2 shown]
	v_mul_hi_u32 v16, v82, s6
	v_lshrrev_b32_e32 v16, 6, v16
	v_mul_lo_u32 v16, v16, s7
	v_sub_u32_e32 v68, v82, v16
	v_fma_f64 v[26:27], v[34:35], 2.0, -v[30:31]
	v_mad_u64_u32 v[34:35], s[2:3], s16, v68, 0
	v_mov_b32_e32 v16, v35
	v_mad_u64_u32 v[16:17], s[2:3], s17, v68, v[16:17]
	v_mov_b32_e32 v35, v16
	v_lshl_add_u64 v[16:17], v[66:67], 4, s[10:11]
	v_lshl_add_u64 v[16:17], v[64:65], 4, v[16:17]
	;; [unrolled: 1-line block ×3, first 2 shown]
	global_store_dwordx4 v[34:35], v[22:25], off
	v_add_f64 v[32:33], v[80:81], v[78:79]
	v_fma_f64 v[28:29], v[80:81], 2.0, -v[32:33]
	v_add_u32_e32 v25, 0xa9, v68
	v_mad_u64_u32 v[22:23], s[2:3], s16, v25, 0
	v_mov_b32_e32 v24, v23
	v_mad_u64_u32 v[24:25], s[2:3], s17, v25, v[24:25]
	v_mov_b32_e32 v23, v24
	v_lshl_add_u64 v[22:23], v[22:23], 4, v[16:17]
	v_add_u32_e32 v25, 0x152, v68
	global_store_dwordx4 v[22:23], v[26:29], off
	v_mad_u64_u32 v[22:23], s[2:3], s16, v25, 0
	v_mov_b32_e32 v24, v23
	v_mad_u64_u32 v[24:25], s[2:3], s17, v25, v[24:25]
	v_mov_b32_e32 v23, v24
	v_lshl_add_u64 v[22:23], v[22:23], 4, v[16:17]
	global_store_dwordx4 v[22:23], v[18:21], off
	v_fma_f64 v[70:71], v[84:85], 2.0, -v[60:61]
	v_add_f64 v[38:39], v[40:41], v[42:43]
	v_add_u32_e32 v21, 0x1fb, v68
	v_mad_u64_u32 v[18:19], s[2:3], s16, v21, 0
	v_mov_b32_e32 v20, v19
	v_mad_u64_u32 v[20:21], s[2:3], s17, v21, v[20:21]
	v_mov_b32_e32 v19, v20
	v_lshl_add_u64 v[18:19], v[18:19], 4, v[16:17]
	global_store_dwordx4 v[18:19], v[30:33], off
	v_add_u32_e32 v18, 52, v82
	v_mul_hi_u32 v19, v18, s6
	v_lshrrev_b32_e32 v19, 6, v19
	v_mul_lo_u32 v20, v19, s7
	v_sub_u32_e32 v18, v18, v20
	v_mad_u64_u32 v[18:19], s[2:3], v19, s8, v[18:19]
	v_mad_u64_u32 v[20:21], s[2:3], s16, v18, 0
	v_mov_b32_e32 v22, v21
	v_mad_u64_u32 v[22:23], s[2:3], s17, v18, v[22:23]
	v_mov_b32_e32 v21, v22
	v_lshl_add_u64 v[20:21], v[20:21], 4, v[16:17]
	v_add_u32_e32 v19, 0xa9, v18
	global_store_dwordx4 v[20:21], v[70:73], off
	v_mad_u64_u32 v[20:21], s[2:3], s16, v19, 0
	v_mov_b32_e32 v22, v21
	v_mad_u64_u32 v[22:23], s[2:3], s17, v19, v[22:23]
	v_mov_b32_e32 v21, v22
	v_fma_f64 v[42:43], v[40:41], 2.0, -v[38:39]
	v_fma_f64 v[40:41], v[56:57], 2.0, -v[36:37]
	;; [unrolled: 1-line block ×3, first 2 shown]
	v_lshl_add_u64 v[20:21], v[20:21], 4, v[16:17]
	v_add_u32_e32 v19, 0x152, v18
	global_store_dwordx4 v[20:21], v[56:59], off
	v_mad_u64_u32 v[20:21], s[2:3], s16, v19, 0
	v_mov_b32_e32 v22, v21
	v_mad_u64_u32 v[22:23], s[2:3], s17, v19, v[22:23]
	v_mov_b32_e32 v21, v22
	v_lshl_add_u64 v[20:21], v[20:21], 4, v[16:17]
	global_store_dwordx4 v[20:21], v[60:63], off
	v_add_u32_e32 v21, 0x1fb, v18
	v_mad_u64_u32 v[18:19], s[2:3], s16, v21, 0
	v_mov_b32_e32 v20, v19
	v_mad_u64_u32 v[20:21], s[2:3], s17, v21, v[20:21]
	v_mov_b32_e32 v19, v20
	v_lshl_add_u64 v[18:19], v[18:19], 4, v[16:17]
	global_store_dwordx4 v[18:19], v[48:51], off
	v_add_u32_e32 v18, 0x68, v82
	v_mul_hi_u32 v19, v18, s6
	v_lshrrev_b32_e32 v19, 6, v19
	v_mul_lo_u32 v20, v19, s7
	v_sub_u32_e32 v18, v18, v20
	v_mad_u64_u32 v[18:19], s[2:3], v19, s8, v[18:19]
	v_mad_u64_u32 v[20:21], s[2:3], s16, v18, 0
	v_mov_b32_e32 v22, v21
	v_mad_u64_u32 v[22:23], s[2:3], s17, v18, v[22:23]
	v_mov_b32_e32 v21, v22
	v_lshl_add_u64 v[20:21], v[20:21], 4, v[16:17]
	v_add_u32_e32 v19, 0xa9, v18
	global_store_dwordx4 v[20:21], v[52:55], off
	v_mad_u64_u32 v[20:21], s[2:3], s16, v19, 0
	v_mov_b32_e32 v22, v21
	v_mad_u64_u32 v[22:23], s[2:3], s17, v19, v[22:23]
	v_mov_b32_e32 v21, v22
	v_lshl_add_u64 v[20:21], v[20:21], 4, v[16:17]
	v_add_u32_e32 v19, 0x152, v18
	global_store_dwordx4 v[20:21], v[40:43], off
	v_mad_u64_u32 v[20:21], s[2:3], s16, v19, 0
	v_mov_b32_e32 v22, v21
	v_mad_u64_u32 v[22:23], s[2:3], s17, v19, v[22:23]
	v_mov_b32_e32 v21, v22
	v_lshl_add_u64 v[20:21], v[20:21], 4, v[16:17]
	global_store_dwordx4 v[20:21], v[44:47], off
	v_add_u32_e32 v21, 0x1fb, v18
	v_mad_u64_u32 v[18:19], s[2:3], s16, v21, 0
	v_mov_b32_e32 v20, v19
	v_mad_u64_u32 v[20:21], s[2:3], s17, v21, v[20:21]
	v_mov_b32_e32 v19, v20
	v_lshl_add_u64 v[18:19], v[18:19], 4, v[16:17]
	global_store_dwordx4 v[18:19], v[36:39], off
	v_add_u32_e32 v18, 0x9c, v82
	v_cmp_gt_u32_e32 vcc, s7, v18
	s_and_b64 exec, exec, vcc
	s_cbranch_execz .LBB0_18
; %bb.17:
	v_add_u32_e32 v19, -13, v82
	v_cndmask_b32_e64 v19, v19, v83, s[0:1]
	v_mul_i32_i24_e32 v68, 3, v19
	v_lshl_add_u64 v[32:33], v[68:69], 4, s[4:5]
	global_load_dwordx4 v[20:23], v[32:33], off offset:2496
	global_load_dwordx4 v[24:27], v[32:33], off offset:2512
	;; [unrolled: 1-line block ×3, first 2 shown]
	v_mad_u64_u32 v[32:33], s[0:1], s16, v18, 0
	v_add_u32_e32 v35, 0x145, v82
	v_add_u32_e32 v43, 0x1ee, v82
	;; [unrolled: 1-line block ×3, first 2 shown]
	v_mov_b32_e32 v34, v33
	v_mad_u64_u32 v[36:37], s[0:1], s16, v35, 0
	v_mad_u64_u32 v[38:39], s[0:1], s16, v43, 0
	;; [unrolled: 1-line block ×4, first 2 shown]
	v_mov_b32_e32 v34, v37
	v_mov_b32_e32 v42, v39
	;; [unrolled: 1-line block ×4, first 2 shown]
	v_mad_u64_u32 v[18:19], s[0:1], s17, v35, v[34:35]
	v_mad_u64_u32 v[34:35], s[0:1], s17, v43, v[42:43]
	;; [unrolled: 1-line block ×3, first 2 shown]
	v_mov_b32_e32 v37, v18
	v_mov_b32_e32 v39, v34
	;; [unrolled: 1-line block ×3, first 2 shown]
	v_lshl_add_u64 v[32:33], v[32:33], 4, v[16:17]
	v_lshl_add_u64 v[18:19], v[36:37], 4, v[16:17]
	;; [unrolled: 1-line block ×4, first 2 shown]
	s_waitcnt vmcnt(2)
	v_mul_f64 v[36:37], v[6:7], v[22:23]
	v_mul_f64 v[22:23], v[4:5], v[22:23]
	s_waitcnt vmcnt(1)
	v_mul_f64 v[38:39], v[10:11], v[26:27]
	v_mul_f64 v[26:27], v[8:9], v[26:27]
	s_waitcnt vmcnt(0)
	v_mul_f64 v[40:41], v[14:15], v[30:31]
	v_mul_f64 v[30:31], v[12:13], v[30:31]
	v_fma_f64 v[4:5], v[4:5], v[20:21], -v[36:37]
	v_fmac_f64_e32 v[22:23], v[6:7], v[20:21]
	v_fma_f64 v[6:7], v[8:9], v[24:25], -v[38:39]
	v_fmac_f64_e32 v[26:27], v[10:11], v[24:25]
	;; [unrolled: 2-line block ×3, first 2 shown]
	v_add_f64 v[10:11], v[0:1], -v[6:7]
	v_add_f64 v[12:13], v[2:3], -v[26:27]
	;; [unrolled: 1-line block ×4, first 2 shown]
	v_fma_f64 v[14:15], v[0:1], 2.0, -v[10:11]
	v_fma_f64 v[20:21], v[2:3], 2.0, -v[12:13]
	;; [unrolled: 1-line block ×4, first 2 shown]
	v_add_f64 v[0:1], v[10:11], -v[8:9]
	v_add_f64 v[2:3], v[12:13], v[6:7]
	v_add_f64 v[4:5], v[14:15], -v[4:5]
	v_add_f64 v[6:7], v[20:21], -v[22:23]
	v_fma_f64 v[8:9], v[10:11], 2.0, -v[0:1]
	v_fma_f64 v[10:11], v[12:13], 2.0, -v[2:3]
	;; [unrolled: 1-line block ×4, first 2 shown]
	global_store_dwordx4 v[32:33], v[12:15], off
	global_store_dwordx4 v[18:19], v[8:11], off
	;; [unrolled: 1-line block ×4, first 2 shown]
.LBB0_18:
	s_endpgm
	.section	.rodata,"a",@progbits
	.p2align	6, 0x0
	.amdhsa_kernel fft_rtc_fwd_len676_factors_13_13_4_wgs_52_tpt_52_dp_op_CI_CI_sbrr_dirReg
		.amdhsa_group_segment_fixed_size 0
		.amdhsa_private_segment_fixed_size 0
		.amdhsa_kernarg_size 104
		.amdhsa_user_sgpr_count 2
		.amdhsa_user_sgpr_dispatch_ptr 0
		.amdhsa_user_sgpr_queue_ptr 0
		.amdhsa_user_sgpr_kernarg_segment_ptr 1
		.amdhsa_user_sgpr_dispatch_id 0
		.amdhsa_user_sgpr_kernarg_preload_length 0
		.amdhsa_user_sgpr_kernarg_preload_offset 0
		.amdhsa_user_sgpr_private_segment_size 0
		.amdhsa_uses_dynamic_stack 0
		.amdhsa_enable_private_segment 0
		.amdhsa_system_sgpr_workgroup_id_x 1
		.amdhsa_system_sgpr_workgroup_id_y 0
		.amdhsa_system_sgpr_workgroup_id_z 0
		.amdhsa_system_sgpr_workgroup_info 0
		.amdhsa_system_vgpr_workitem_id 0
		.amdhsa_next_free_vgpr 120
		.amdhsa_next_free_sgpr 46
		.amdhsa_accum_offset 120
		.amdhsa_reserve_vcc 1
		.amdhsa_float_round_mode_32 0
		.amdhsa_float_round_mode_16_64 0
		.amdhsa_float_denorm_mode_32 3
		.amdhsa_float_denorm_mode_16_64 3
		.amdhsa_dx10_clamp 1
		.amdhsa_ieee_mode 1
		.amdhsa_fp16_overflow 0
		.amdhsa_tg_split 0
		.amdhsa_exception_fp_ieee_invalid_op 0
		.amdhsa_exception_fp_denorm_src 0
		.amdhsa_exception_fp_ieee_div_zero 0
		.amdhsa_exception_fp_ieee_overflow 0
		.amdhsa_exception_fp_ieee_underflow 0
		.amdhsa_exception_fp_ieee_inexact 0
		.amdhsa_exception_int_div_zero 0
	.end_amdhsa_kernel
	.text
.Lfunc_end0:
	.size	fft_rtc_fwd_len676_factors_13_13_4_wgs_52_tpt_52_dp_op_CI_CI_sbrr_dirReg, .Lfunc_end0-fft_rtc_fwd_len676_factors_13_13_4_wgs_52_tpt_52_dp_op_CI_CI_sbrr_dirReg
                                        ; -- End function
	.section	.AMDGPU.csdata,"",@progbits
; Kernel info:
; codeLenInByte = 11608
; NumSgprs: 52
; NumVgprs: 120
; NumAgprs: 0
; TotalNumVgprs: 120
; ScratchSize: 0
; MemoryBound: 1
; FloatMode: 240
; IeeeMode: 1
; LDSByteSize: 0 bytes/workgroup (compile time only)
; SGPRBlocks: 6
; VGPRBlocks: 14
; NumSGPRsForWavesPerEU: 52
; NumVGPRsForWavesPerEU: 120
; AccumOffset: 120
; Occupancy: 4
; WaveLimiterHint : 1
; COMPUTE_PGM_RSRC2:SCRATCH_EN: 0
; COMPUTE_PGM_RSRC2:USER_SGPR: 2
; COMPUTE_PGM_RSRC2:TRAP_HANDLER: 0
; COMPUTE_PGM_RSRC2:TGID_X_EN: 1
; COMPUTE_PGM_RSRC2:TGID_Y_EN: 0
; COMPUTE_PGM_RSRC2:TGID_Z_EN: 0
; COMPUTE_PGM_RSRC2:TIDIG_COMP_CNT: 0
; COMPUTE_PGM_RSRC3_GFX90A:ACCUM_OFFSET: 29
; COMPUTE_PGM_RSRC3_GFX90A:TG_SPLIT: 0
	.text
	.p2alignl 6, 3212836864
	.fill 256, 4, 3212836864
	.type	__hip_cuid_d3305c0565103eb7,@object ; @__hip_cuid_d3305c0565103eb7
	.section	.bss,"aw",@nobits
	.globl	__hip_cuid_d3305c0565103eb7
__hip_cuid_d3305c0565103eb7:
	.byte	0                               ; 0x0
	.size	__hip_cuid_d3305c0565103eb7, 1

	.ident	"AMD clang version 19.0.0git (https://github.com/RadeonOpenCompute/llvm-project roc-6.4.0 25133 c7fe45cf4b819c5991fe208aaa96edf142730f1d)"
	.section	".note.GNU-stack","",@progbits
	.addrsig
	.addrsig_sym __hip_cuid_d3305c0565103eb7
	.amdgpu_metadata
---
amdhsa.kernels:
  - .agpr_count:     0
    .args:
      - .actual_access:  read_only
        .address_space:  global
        .offset:         0
        .size:           8
        .value_kind:     global_buffer
      - .offset:         8
        .size:           8
        .value_kind:     by_value
      - .actual_access:  read_only
        .address_space:  global
        .offset:         16
        .size:           8
        .value_kind:     global_buffer
      - .actual_access:  read_only
        .address_space:  global
        .offset:         24
        .size:           8
        .value_kind:     global_buffer
      - .actual_access:  read_only
        .address_space:  global
        .offset:         32
        .size:           8
        .value_kind:     global_buffer
      - .offset:         40
        .size:           8
        .value_kind:     by_value
      - .actual_access:  read_only
        .address_space:  global
        .offset:         48
        .size:           8
        .value_kind:     global_buffer
      - .actual_access:  read_only
        .address_space:  global
        .offset:         56
        .size:           8
        .value_kind:     global_buffer
      - .offset:         64
        .size:           4
        .value_kind:     by_value
      - .actual_access:  read_only
        .address_space:  global
        .offset:         72
        .size:           8
        .value_kind:     global_buffer
      - .actual_access:  read_only
        .address_space:  global
        .offset:         80
        .size:           8
        .value_kind:     global_buffer
      - .actual_access:  read_only
        .address_space:  global
        .offset:         88
        .size:           8
        .value_kind:     global_buffer
      - .actual_access:  write_only
        .address_space:  global
        .offset:         96
        .size:           8
        .value_kind:     global_buffer
    .group_segment_fixed_size: 0
    .kernarg_segment_align: 8
    .kernarg_segment_size: 104
    .language:       OpenCL C
    .language_version:
      - 2
      - 0
    .max_flat_workgroup_size: 52
    .name:           fft_rtc_fwd_len676_factors_13_13_4_wgs_52_tpt_52_dp_op_CI_CI_sbrr_dirReg
    .private_segment_fixed_size: 0
    .sgpr_count:     52
    .sgpr_spill_count: 0
    .symbol:         fft_rtc_fwd_len676_factors_13_13_4_wgs_52_tpt_52_dp_op_CI_CI_sbrr_dirReg.kd
    .uniform_work_group_size: 1
    .uses_dynamic_stack: false
    .vgpr_count:     120
    .vgpr_spill_count: 0
    .wavefront_size: 64
amdhsa.target:   amdgcn-amd-amdhsa--gfx950
amdhsa.version:
  - 1
  - 2
...

	.end_amdgpu_metadata
